;; amdgpu-corpus repo=ROCm/rocFFT kind=compiled arch=gfx1201 opt=O3
	.text
	.amdgcn_target "amdgcn-amd-amdhsa--gfx1201"
	.amdhsa_code_object_version 6
	.protected	fft_rtc_fwd_len1176_factors_2_2_2_3_7_7_wgs_56_tpt_56_halfLds_dp_ip_CI_unitstride_sbrr_dirReg ; -- Begin function fft_rtc_fwd_len1176_factors_2_2_2_3_7_7_wgs_56_tpt_56_halfLds_dp_ip_CI_unitstride_sbrr_dirReg
	.globl	fft_rtc_fwd_len1176_factors_2_2_2_3_7_7_wgs_56_tpt_56_halfLds_dp_ip_CI_unitstride_sbrr_dirReg
	.p2align	8
	.type	fft_rtc_fwd_len1176_factors_2_2_2_3_7_7_wgs_56_tpt_56_halfLds_dp_ip_CI_unitstride_sbrr_dirReg,@function
fft_rtc_fwd_len1176_factors_2_2_2_3_7_7_wgs_56_tpt_56_halfLds_dp_ip_CI_unitstride_sbrr_dirReg: ; @fft_rtc_fwd_len1176_factors_2_2_2_3_7_7_wgs_56_tpt_56_halfLds_dp_ip_CI_unitstride_sbrr_dirReg
; %bb.0:
	s_clause 0x2
	s_load_b128 s[4:7], s[0:1], 0x0
	s_load_b64 s[8:9], s[0:1], 0x50
	s_load_b64 s[10:11], s[0:1], 0x18
	v_mul_u32_u24_e32 v1, 0x493, v0
	v_mov_b32_e32 v3, 0
	s_delay_alu instid0(VALU_DEP_2) | instskip(NEXT) | instid1(VALU_DEP_1)
	v_lshrrev_b32_e32 v1, 16, v1
	v_add_nc_u32_e32 v5, ttmp9, v1
	v_mov_b32_e32 v1, 0
	v_mov_b32_e32 v2, 0
	;; [unrolled: 1-line block ×3, first 2 shown]
	s_wait_kmcnt 0x0
	v_cmp_lt_u64_e64 s2, s[6:7], 2
	s_delay_alu instid0(VALU_DEP_1)
	s_and_b32 vcc_lo, exec_lo, s2
	s_cbranch_vccnz .LBB0_8
; %bb.1:
	s_load_b64 s[2:3], s[0:1], 0x10
	v_mov_b32_e32 v1, 0
	v_mov_b32_e32 v2, 0
	s_add_nc_u64 s[12:13], s[10:11], 8
	s_mov_b64 s[14:15], 1
	s_wait_kmcnt 0x0
	s_add_nc_u64 s[16:17], s[2:3], 8
	s_mov_b32 s3, 0
.LBB0_2:                                ; =>This Inner Loop Header: Depth=1
	s_load_b64 s[18:19], s[16:17], 0x0
                                        ; implicit-def: $vgpr7_vgpr8
	s_mov_b32 s2, exec_lo
	s_wait_kmcnt 0x0
	v_or_b32_e32 v4, s19, v6
	s_delay_alu instid0(VALU_DEP_1)
	v_cmpx_ne_u64_e32 0, v[3:4]
	s_wait_alu 0xfffe
	s_xor_b32 s20, exec_lo, s2
	s_cbranch_execz .LBB0_4
; %bb.3:                                ;   in Loop: Header=BB0_2 Depth=1
	s_cvt_f32_u32 s2, s18
	s_cvt_f32_u32 s21, s19
	s_sub_nc_u64 s[24:25], 0, s[18:19]
	s_wait_alu 0xfffe
	s_delay_alu instid0(SALU_CYCLE_1) | instskip(SKIP_1) | instid1(SALU_CYCLE_2)
	s_fmamk_f32 s2, s21, 0x4f800000, s2
	s_wait_alu 0xfffe
	v_s_rcp_f32 s2, s2
	s_delay_alu instid0(TRANS32_DEP_1) | instskip(SKIP_1) | instid1(SALU_CYCLE_2)
	s_mul_f32 s2, s2, 0x5f7ffffc
	s_wait_alu 0xfffe
	s_mul_f32 s21, s2, 0x2f800000
	s_wait_alu 0xfffe
	s_delay_alu instid0(SALU_CYCLE_2) | instskip(SKIP_1) | instid1(SALU_CYCLE_2)
	s_trunc_f32 s21, s21
	s_wait_alu 0xfffe
	s_fmamk_f32 s2, s21, 0xcf800000, s2
	s_cvt_u32_f32 s23, s21
	s_wait_alu 0xfffe
	s_delay_alu instid0(SALU_CYCLE_1) | instskip(SKIP_1) | instid1(SALU_CYCLE_2)
	s_cvt_u32_f32 s22, s2
	s_wait_alu 0xfffe
	s_mul_u64 s[26:27], s[24:25], s[22:23]
	s_wait_alu 0xfffe
	s_mul_hi_u32 s29, s22, s27
	s_mul_i32 s28, s22, s27
	s_mul_hi_u32 s2, s22, s26
	s_mul_i32 s30, s23, s26
	s_wait_alu 0xfffe
	s_add_nc_u64 s[28:29], s[2:3], s[28:29]
	s_mul_hi_u32 s21, s23, s26
	s_mul_hi_u32 s31, s23, s27
	s_add_co_u32 s2, s28, s30
	s_wait_alu 0xfffe
	s_add_co_ci_u32 s2, s29, s21
	s_mul_i32 s26, s23, s27
	s_add_co_ci_u32 s27, s31, 0
	s_wait_alu 0xfffe
	s_add_nc_u64 s[26:27], s[2:3], s[26:27]
	s_wait_alu 0xfffe
	v_add_co_u32 v4, s2, s22, s26
	s_delay_alu instid0(VALU_DEP_1) | instskip(SKIP_1) | instid1(VALU_DEP_1)
	s_cmp_lg_u32 s2, 0
	s_add_co_ci_u32 s23, s23, s27
	v_readfirstlane_b32 s22, v4
	s_wait_alu 0xfffe
	s_delay_alu instid0(VALU_DEP_1)
	s_mul_u64 s[24:25], s[24:25], s[22:23]
	s_wait_alu 0xfffe
	s_mul_hi_u32 s27, s22, s25
	s_mul_i32 s26, s22, s25
	s_mul_hi_u32 s2, s22, s24
	s_mul_i32 s28, s23, s24
	s_wait_alu 0xfffe
	s_add_nc_u64 s[26:27], s[2:3], s[26:27]
	s_mul_hi_u32 s21, s23, s24
	s_mul_hi_u32 s22, s23, s25
	s_wait_alu 0xfffe
	s_add_co_u32 s2, s26, s28
	s_add_co_ci_u32 s2, s27, s21
	s_mul_i32 s24, s23, s25
	s_add_co_ci_u32 s25, s22, 0
	s_wait_alu 0xfffe
	s_add_nc_u64 s[24:25], s[2:3], s[24:25]
	s_wait_alu 0xfffe
	v_add_co_u32 v4, s2, v4, s24
	s_delay_alu instid0(VALU_DEP_1) | instskip(SKIP_1) | instid1(VALU_DEP_1)
	s_cmp_lg_u32 s2, 0
	s_add_co_ci_u32 s2, s23, s25
	v_mul_hi_u32 v13, v5, v4
	s_wait_alu 0xfffe
	v_mad_co_u64_u32 v[7:8], null, v5, s2, 0
	v_mad_co_u64_u32 v[9:10], null, v6, v4, 0
	;; [unrolled: 1-line block ×3, first 2 shown]
	s_delay_alu instid0(VALU_DEP_3) | instskip(SKIP_1) | instid1(VALU_DEP_4)
	v_add_co_u32 v4, vcc_lo, v13, v7
	s_wait_alu 0xfffd
	v_add_co_ci_u32_e32 v7, vcc_lo, 0, v8, vcc_lo
	s_delay_alu instid0(VALU_DEP_2) | instskip(SKIP_1) | instid1(VALU_DEP_2)
	v_add_co_u32 v4, vcc_lo, v4, v9
	s_wait_alu 0xfffd
	v_add_co_ci_u32_e32 v4, vcc_lo, v7, v10, vcc_lo
	s_wait_alu 0xfffd
	v_add_co_ci_u32_e32 v7, vcc_lo, 0, v12, vcc_lo
	s_delay_alu instid0(VALU_DEP_2) | instskip(SKIP_1) | instid1(VALU_DEP_2)
	v_add_co_u32 v4, vcc_lo, v4, v11
	s_wait_alu 0xfffd
	v_add_co_ci_u32_e32 v9, vcc_lo, 0, v7, vcc_lo
	s_delay_alu instid0(VALU_DEP_2) | instskip(SKIP_1) | instid1(VALU_DEP_3)
	v_mul_lo_u32 v10, s19, v4
	v_mad_co_u64_u32 v[7:8], null, s18, v4, 0
	v_mul_lo_u32 v11, s18, v9
	s_delay_alu instid0(VALU_DEP_2) | instskip(NEXT) | instid1(VALU_DEP_2)
	v_sub_co_u32 v7, vcc_lo, v5, v7
	v_add3_u32 v8, v8, v11, v10
	s_delay_alu instid0(VALU_DEP_1) | instskip(SKIP_1) | instid1(VALU_DEP_1)
	v_sub_nc_u32_e32 v10, v6, v8
	s_wait_alu 0xfffd
	v_subrev_co_ci_u32_e64 v10, s2, s19, v10, vcc_lo
	v_add_co_u32 v11, s2, v4, 2
	s_wait_alu 0xf1ff
	v_add_co_ci_u32_e64 v12, s2, 0, v9, s2
	v_sub_co_u32 v13, s2, v7, s18
	v_sub_co_ci_u32_e32 v8, vcc_lo, v6, v8, vcc_lo
	s_wait_alu 0xf1ff
	v_subrev_co_ci_u32_e64 v10, s2, 0, v10, s2
	s_delay_alu instid0(VALU_DEP_3) | instskip(NEXT) | instid1(VALU_DEP_3)
	v_cmp_le_u32_e32 vcc_lo, s18, v13
	v_cmp_eq_u32_e64 s2, s19, v8
	s_wait_alu 0xfffd
	v_cndmask_b32_e64 v13, 0, -1, vcc_lo
	v_cmp_le_u32_e32 vcc_lo, s19, v10
	s_wait_alu 0xfffd
	v_cndmask_b32_e64 v14, 0, -1, vcc_lo
	v_cmp_le_u32_e32 vcc_lo, s18, v7
	;; [unrolled: 3-line block ×3, first 2 shown]
	s_wait_alu 0xfffd
	v_cndmask_b32_e64 v15, 0, -1, vcc_lo
	v_cmp_eq_u32_e32 vcc_lo, s19, v10
	s_wait_alu 0xf1ff
	s_delay_alu instid0(VALU_DEP_2)
	v_cndmask_b32_e64 v7, v15, v7, s2
	s_wait_alu 0xfffd
	v_cndmask_b32_e32 v10, v14, v13, vcc_lo
	v_add_co_u32 v13, vcc_lo, v4, 1
	s_wait_alu 0xfffd
	v_add_co_ci_u32_e32 v14, vcc_lo, 0, v9, vcc_lo
	s_delay_alu instid0(VALU_DEP_3) | instskip(SKIP_2) | instid1(VALU_DEP_3)
	v_cmp_ne_u32_e32 vcc_lo, 0, v10
	s_wait_alu 0xfffd
	v_cndmask_b32_e32 v10, v13, v11, vcc_lo
	v_cndmask_b32_e32 v8, v14, v12, vcc_lo
	v_cmp_ne_u32_e32 vcc_lo, 0, v7
	s_wait_alu 0xfffd
	s_delay_alu instid0(VALU_DEP_2)
	v_dual_cndmask_b32 v7, v4, v10 :: v_dual_cndmask_b32 v8, v9, v8
.LBB0_4:                                ;   in Loop: Header=BB0_2 Depth=1
	s_wait_alu 0xfffe
	s_and_not1_saveexec_b32 s2, s20
	s_cbranch_execz .LBB0_6
; %bb.5:                                ;   in Loop: Header=BB0_2 Depth=1
	v_cvt_f32_u32_e32 v4, s18
	s_sub_co_i32 s20, 0, s18
	s_delay_alu instid0(VALU_DEP_1) | instskip(NEXT) | instid1(TRANS32_DEP_1)
	v_rcp_iflag_f32_e32 v4, v4
	v_mul_f32_e32 v4, 0x4f7ffffe, v4
	s_delay_alu instid0(VALU_DEP_1) | instskip(SKIP_1) | instid1(VALU_DEP_1)
	v_cvt_u32_f32_e32 v4, v4
	s_wait_alu 0xfffe
	v_mul_lo_u32 v7, s20, v4
	s_delay_alu instid0(VALU_DEP_1) | instskip(NEXT) | instid1(VALU_DEP_1)
	v_mul_hi_u32 v7, v4, v7
	v_add_nc_u32_e32 v4, v4, v7
	s_delay_alu instid0(VALU_DEP_1) | instskip(NEXT) | instid1(VALU_DEP_1)
	v_mul_hi_u32 v4, v5, v4
	v_mul_lo_u32 v7, v4, s18
	v_add_nc_u32_e32 v8, 1, v4
	s_delay_alu instid0(VALU_DEP_2) | instskip(NEXT) | instid1(VALU_DEP_1)
	v_sub_nc_u32_e32 v7, v5, v7
	v_subrev_nc_u32_e32 v9, s18, v7
	v_cmp_le_u32_e32 vcc_lo, s18, v7
	s_wait_alu 0xfffd
	s_delay_alu instid0(VALU_DEP_2) | instskip(NEXT) | instid1(VALU_DEP_1)
	v_dual_cndmask_b32 v7, v7, v9 :: v_dual_cndmask_b32 v4, v4, v8
	v_cmp_le_u32_e32 vcc_lo, s18, v7
	s_delay_alu instid0(VALU_DEP_2) | instskip(SKIP_1) | instid1(VALU_DEP_1)
	v_add_nc_u32_e32 v8, 1, v4
	s_wait_alu 0xfffd
	v_dual_cndmask_b32 v7, v4, v8 :: v_dual_mov_b32 v8, v3
.LBB0_6:                                ;   in Loop: Header=BB0_2 Depth=1
	s_wait_alu 0xfffe
	s_or_b32 exec_lo, exec_lo, s2
	s_load_b64 s[20:21], s[12:13], 0x0
	s_delay_alu instid0(VALU_DEP_1)
	v_mul_lo_u32 v4, v8, s18
	v_mul_lo_u32 v11, v7, s19
	v_mad_co_u64_u32 v[9:10], null, v7, s18, 0
	s_add_nc_u64 s[14:15], s[14:15], 1
	s_add_nc_u64 s[12:13], s[12:13], 8
	s_wait_alu 0xfffe
	v_cmp_ge_u64_e64 s2, s[14:15], s[6:7]
	s_add_nc_u64 s[16:17], s[16:17], 8
	s_delay_alu instid0(VALU_DEP_2) | instskip(NEXT) | instid1(VALU_DEP_3)
	v_add3_u32 v4, v10, v11, v4
	v_sub_co_u32 v5, vcc_lo, v5, v9
	s_wait_alu 0xfffd
	s_delay_alu instid0(VALU_DEP_2) | instskip(SKIP_3) | instid1(VALU_DEP_2)
	v_sub_co_ci_u32_e32 v4, vcc_lo, v6, v4, vcc_lo
	s_and_b32 vcc_lo, exec_lo, s2
	s_wait_kmcnt 0x0
	v_mul_lo_u32 v6, s21, v5
	v_mul_lo_u32 v4, s20, v4
	v_mad_co_u64_u32 v[1:2], null, s20, v5, v[1:2]
	s_delay_alu instid0(VALU_DEP_1)
	v_add3_u32 v2, v6, v2, v4
	s_wait_alu 0xfffe
	s_cbranch_vccnz .LBB0_9
; %bb.7:                                ;   in Loop: Header=BB0_2 Depth=1
	v_dual_mov_b32 v5, v7 :: v_dual_mov_b32 v6, v8
	s_branch .LBB0_2
.LBB0_8:
	v_dual_mov_b32 v8, v6 :: v_dual_mov_b32 v7, v5
.LBB0_9:
	s_lshl_b64 s[2:3], s[6:7], 3
	v_mul_hi_u32 v3, 0x4924925, v0
	s_wait_alu 0xfffe
	s_add_nc_u64 s[2:3], s[10:11], s[2:3]
	s_load_b64 s[2:3], s[2:3], 0x0
	s_load_b64 s[0:1], s[0:1], 0x20
	s_delay_alu instid0(VALU_DEP_1) | instskip(NEXT) | instid1(VALU_DEP_1)
	v_mul_u32_u24_e32 v3, 56, v3
	v_sub_nc_u32_e32 v126, v0, v3
	s_delay_alu instid0(VALU_DEP_1)
	v_or_b32_e32 v140, 0x1c0, v126
	s_wait_kmcnt 0x0
	v_mul_lo_u32 v4, s2, v8
	v_mul_lo_u32 v5, s3, v7
	v_mad_co_u64_u32 v[1:2], null, s2, v7, v[1:2]
	v_cmp_gt_u64_e32 vcc_lo, s[0:1], v[7:8]
	v_cmp_le_u64_e64 s0, s[0:1], v[7:8]
	s_delay_alu instid0(VALU_DEP_3) | instskip(NEXT) | instid1(VALU_DEP_2)
	v_add3_u32 v2, v5, v2, v4
	s_and_saveexec_b32 s1, s0
	s_wait_alu 0xfffe
	s_xor_b32 s0, exec_lo, s1
; %bb.10:
	v_or_b32_e32 v140, 0x1c0, v126
; %bb.11:
	s_wait_alu 0xfffe
	s_or_saveexec_b32 s1, s0
	v_lshlrev_b64_e32 v[128:129], 4, v[1:2]
                                        ; implicit-def: $vgpr88_vgpr89
                                        ; implicit-def: $vgpr58_vgpr59
                                        ; implicit-def: $vgpr78_vgpr79
                                        ; implicit-def: $vgpr38_vgpr39
                                        ; implicit-def: $vgpr82_vgpr83
                                        ; implicit-def: $vgpr34_vgpr35
                                        ; implicit-def: $vgpr70_vgpr71
                                        ; implicit-def: $vgpr30_vgpr31
                                        ; implicit-def: $vgpr74_vgpr75
                                        ; implicit-def: $vgpr26_vgpr27
                                        ; implicit-def: $vgpr62_vgpr63
                                        ; implicit-def: $vgpr22_vgpr23
                                        ; implicit-def: $vgpr66_vgpr67
                                        ; implicit-def: $vgpr18_vgpr19
                                        ; implicit-def: $vgpr50_vgpr51
                                        ; implicit-def: $vgpr14_vgpr15
                                        ; implicit-def: $vgpr54_vgpr55
                                        ; implicit-def: $vgpr10_vgpr11
                                        ; implicit-def: $vgpr42_vgpr43
                                        ; implicit-def: $vgpr6_vgpr7
                                        ; implicit-def: $vgpr46_vgpr47
                                        ; implicit-def: $vgpr2_vgpr3
	s_wait_alu 0xfffe
	s_xor_b32 exec_lo, exec_lo, s1
	s_cbranch_execz .LBB0_15
; %bb.12:
	v_mov_b32_e32 v127, 0
	s_delay_alu instid0(VALU_DEP_2) | instskip(SKIP_2) | instid1(VALU_DEP_3)
	v_add_co_u32 v2, s0, s8, v128
	s_wait_alu 0xf1ff
	v_add_co_ci_u32_e64 v3, s0, s9, v129, s0
	v_lshlrev_b64_e32 v[0:1], 4, v[126:127]
	s_mov_b32 s2, exec_lo
                                        ; implicit-def: $vgpr56_vgpr57
                                        ; implicit-def: $vgpr86_vgpr87
	s_delay_alu instid0(VALU_DEP_1) | instskip(SKIP_1) | instid1(VALU_DEP_2)
	v_add_co_u32 v84, s0, v2, v0
	s_wait_alu 0xf1ff
	v_add_co_ci_u32_e64 v85, s0, v3, v1, s0
	s_clause 0x13
	global_load_b128 v[0:3], v[84:85], off
	global_load_b128 v[4:7], v[84:85], off offset:896
	global_load_b128 v[44:47], v[84:85], off offset:9408
	;; [unrolled: 1-line block ×19, first 2 shown]
	v_cmpx_gt_u32_e32 28, v126
; %bb.13:
	s_clause 0x1
	global_load_b128 v[56:59], v[84:85], off offset:8960
	global_load_b128 v[86:89], v[84:85], off offset:18368
; %bb.14:
	s_wait_alu 0xfffe
	s_or_b32 exec_lo, exec_lo, s2
.LBB0_15:
	s_delay_alu instid0(SALU_CYCLE_1)
	s_or_b32 exec_lo, exec_lo, s1
	s_wait_loadcnt 0x11
	v_add_f64_e64 v[92:93], v[0:1], -v[44:45]
	s_wait_loadcnt 0x0
	v_add_f64_e64 v[86:87], v[56:57], -v[86:87]
	v_add_f64_e64 v[96:97], v[4:5], -v[40:41]
	;; [unrolled: 1-line block ×10, first 2 shown]
	v_add_nc_u32_e32 v135, 56, v126
	v_add_nc_u32_e32 v134, 0x70, v126
	;; [unrolled: 1-line block ×6, first 2 shown]
	v_cmp_gt_u32_e64 s0, 28, v126
	v_fma_f64 v[90:91], v[0:1], 2.0, -v[92:93]
	v_fma_f64 v[84:85], v[56:57], 2.0, -v[86:87]
	;; [unrolled: 1-line block ×11, first 2 shown]
	v_add_nc_u32_e32 v17, 0x188, v126
	v_add_nc_u32_e32 v20, 0x1f8, v126
	;; [unrolled: 1-line block ×3, first 2 shown]
	v_lshl_add_u32 v33, v126, 4, 0
	v_lshl_add_u32 v21, v140, 4, 0
	;; [unrolled: 1-line block ×11, first 2 shown]
	ds_store_b128 v33, v[90:93]
	ds_store_b128 v37, v[94:97]
	;; [unrolled: 1-line block ×10, first 2 shown]
	s_and_saveexec_b32 s1, s0
	s_cbranch_execz .LBB0_17
; %bb.16:
	ds_store_b128 v8, v[84:87]
.LBB0_17:
	s_wait_alu 0xfffe
	s_or_b32 exec_lo, exec_lo, s1
	v_lshl_add_u32 v127, v126, 3, 0
	v_lshlrev_b32_e32 v40, 3, v140
	global_wb scope:SCOPE_SE
	s_wait_dscnt 0x0
	s_barrier_signal -1
	s_barrier_wait -1
	v_add_nc_u32_e32 v0, 0xc00, v127
	v_add_nc_u32_e32 v1, 0x1000, v127
	;; [unrolled: 1-line block ×3, first 2 shown]
	global_inv scope:SCOPE_SE
	ds_load_2addr_b64 v[110:113], v127 offset1:56
	ds_load_2addr_b64 v[98:101], v0 offset0:120 offset1:204
	ds_load_2addr_b64 v[94:97], v1 offset0:132 offset1:188
	;; [unrolled: 1-line block ×4, first 2 shown]
	v_add_nc_u32_e32 v0, 0x400, v127
	v_add_nc_u32_e32 v1, 0x1800, v127
	;; [unrolled: 1-line block ×4, first 2 shown]
	v_sub_nc_u32_e32 v12, v21, v40
	ds_load_2addr_b64 v[118:121], v0 offset0:96 offset1:152
	ds_load_2addr_b64 v[106:109], v1 offset0:100 offset1:156
	;; [unrolled: 1-line block ×4, first 2 shown]
	ds_load_b64 v[12:13], v12
	ds_load_b64 v[0:1], v127 offset:8736
	s_and_saveexec_b32 s1, s0
	s_cbranch_execz .LBB0_19
; %bb.18:
	ds_load_b64 v[84:85], v127 offset:4480
	ds_load_b64 v[86:87], v127 offset:9184
.LBB0_19:
	s_wait_alu 0xfffe
	s_or_b32 exec_lo, exec_lo, s1
	v_add_f64_e64 v[44:45], v[2:3], -v[46:47]
	v_add_f64_e64 v[4:5], v[58:59], -v[88:89]
	;; [unrolled: 1-line block ×11, first 2 shown]
	global_wb scope:SCOPE_SE
	s_wait_dscnt 0x0
	s_barrier_signal -1
	s_barrier_wait -1
	global_inv scope:SCOPE_SE
	v_fma_f64 v[42:43], v[2:3], 2.0, -v[44:45]
	v_fma_f64 v[2:3], v[58:59], 2.0, -v[4:5]
	;; [unrolled: 1-line block ×11, first 2 shown]
	v_sub_nc_u32_e32 v10, 0, v40
	ds_store_b128 v33, v[42:45]
	ds_store_b128 v37, v[46:49]
	;; [unrolled: 1-line block ×10, first 2 shown]
	s_and_saveexec_b32 s1, s0
	s_cbranch_execz .LBB0_21
; %bb.20:
	ds_store_b128 v8, v[2:5]
.LBB0_21:
	s_wait_alu 0xfffe
	s_or_b32 exec_lo, exec_lo, s1
	v_add_nc_u32_e32 v6, 0xc00, v127
	v_add_nc_u32_e32 v11, 0x1000, v127
	;; [unrolled: 1-line block ×3, first 2 shown]
	global_wb scope:SCOPE_SE
	s_wait_dscnt 0x0
	s_barrier_signal -1
	s_barrier_wait -1
	global_inv scope:SCOPE_SE
	ds_load_2addr_b64 v[26:29], v127 offset1:56
	ds_load_2addr_b64 v[6:9], v6 offset0:120 offset1:204
	ds_load_2addr_b64 v[46:49], v11 offset0:132 offset1:188
	;; [unrolled: 1-line block ×4, first 2 shown]
	v_add_nc_u32_e32 v11, 0x400, v127
	v_add_nc_u32_e32 v14, 0x1800, v127
	;; [unrolled: 1-line block ×5, first 2 shown]
	ds_load_2addr_b64 v[38:41], v11 offset0:96 offset1:152
	ds_load_2addr_b64 v[54:57], v14 offset0:100 offset1:156
	;; [unrolled: 1-line block ×4, first 2 shown]
	ds_load_b64 v[130:131], v150
	ds_load_b64 v[132:133], v127 offset:8736
	v_lshlrev_b32_e32 v149, 1, v126
	v_lshlrev_b32_e32 v148, 1, v135
	;; [unrolled: 1-line block ×10, first 2 shown]
	s_and_saveexec_b32 s1, s0
	s_cbranch_execz .LBB0_23
; %bb.22:
	ds_load_b64 v[2:3], v127 offset:4480
	ds_load_b64 v[4:5], v127 offset:9184
.LBB0_23:
	s_wait_alu 0xfffe
	s_or_b32 exec_lo, exec_lo, s1
	v_and_b32_e32 v151, 1, v126
	s_delay_alu instid0(VALU_DEP_1)
	v_lshlrev_b32_e32 v10, 4, v151
	v_and_or_b32 v25, 0xfc, v148, v151
	global_load_b128 v[62:65], v10, s[4:5]
	global_wb scope:SCOPE_SE
	s_wait_loadcnt_dscnt 0x0
	s_barrier_signal -1
	s_barrier_wait -1
	global_inv scope:SCOPE_SE
	v_mul_f64_e32 v[10:11], v[8:9], v[64:65]
	v_mul_f64_e32 v[70:71], v[4:5], v[64:65]
	;; [unrolled: 1-line block ×11, first 2 shown]
	v_fma_f64 v[10:11], v[100:101], v[62:63], -v[10:11]
	v_fma_f64 v[70:71], v[86:87], v[62:63], -v[70:71]
	;; [unrolled: 1-line block ×11, first 2 shown]
	v_add_f64_e64 v[10:11], v[110:111], -v[10:11]
	v_add_f64_e64 v[82:83], v[84:85], -v[70:71]
	;; [unrolled: 1-line block ×11, first 2 shown]
	v_fma_f64 v[70:71], v[110:111], 2.0, -v[10:11]
	v_fma_f64 v[84:85], v[84:85], 2.0, -v[82:83]
	;; [unrolled: 1-line block ×11, first 2 shown]
	v_lshlrev_b32_e32 v110, 1, v16
	v_and_or_b32 v16, 0x7c, v149, v151
	v_and_or_b32 v113, 0x1fc, v147, v151
	;; [unrolled: 1-line block ×9, first 2 shown]
	v_lshl_add_u32 v111, v16, 3, 0
	v_lshl_add_u32 v112, v25, 3, 0
	;; [unrolled: 1-line block ×10, first 2 shown]
	ds_store_2addr_b64 v111, v[70:71], v[10:11] offset1:2
	ds_store_2addr_b64 v112, v[72:73], v[14:15] offset1:2
	ds_store_2addr_b64 v113, v[74:75], v[17:18] offset1:2
	ds_store_2addr_b64 v114, v[76:77], v[19:20] offset1:2
	ds_store_2addr_b64 v115, v[78:79], v[21:22] offset1:2
	ds_store_2addr_b64 v116, v[80:81], v[23:24] offset1:2
	ds_store_2addr_b64 v117, v[88:89], v[34:35] offset1:2
	ds_store_2addr_b64 v118, v[121:122], v[36:37] offset1:2
	ds_store_2addr_b64 v119, v[12:13], v[66:67] offset1:2
	ds_store_2addr_b64 v120, v[98:99], v[68:69] offset1:2
	s_and_saveexec_b32 s1, s0
	s_cbranch_execz .LBB0_25
; %bb.24:
	v_and_or_b32 v10, 0x4fc, v110, v151
	s_delay_alu instid0(VALU_DEP_1)
	v_lshl_add_u32 v10, v10, 3, 0
	ds_store_2addr_b64 v10, v[84:85], v[82:83] offset1:2
.LBB0_25:
	s_wait_alu 0xfffe
	s_or_b32 exec_lo, exec_lo, s1
	v_add_nc_u32_e32 v18, 0x1400, v127
	v_add_nc_u32_e32 v10, 0xc00, v127
	;; [unrolled: 1-line block ×7, first 2 shown]
	global_wb scope:SCOPE_SE
	s_wait_dscnt 0x0
	s_barrier_signal -1
	s_barrier_wait -1
	global_inv scope:SCOPE_SE
	ds_load_2addr_b64 v[66:69], v127 offset1:56
	ds_load_2addr_b64 v[14:17], v10 offset0:120 offset1:204
	ds_load_2addr_b64 v[10:13], v11 offset0:132 offset1:188
	;; [unrolled: 1-line block ×8, first 2 shown]
	ds_load_b64 v[98:99], v150
	ds_load_b64 v[88:89], v127 offset:8736
	s_and_saveexec_b32 s1, s0
	s_cbranch_execz .LBB0_27
; %bb.26:
	ds_load_b64 v[84:85], v127 offset:4480
	ds_load_b64 v[82:83], v127 offset:9184
.LBB0_27:
	s_wait_alu 0xfffe
	s_or_b32 exec_lo, exec_lo, s1
	v_mul_f64_e32 v[100:101], v[100:101], v[64:65]
	v_mul_f64_e32 v[94:95], v[94:95], v[64:65]
	;; [unrolled: 1-line block ×11, first 2 shown]
	global_wb scope:SCOPE_SE
	s_wait_dscnt 0x0
	s_barrier_signal -1
	s_barrier_wait -1
	global_inv scope:SCOPE_SE
	v_fma_f64 v[8:9], v[8:9], v[62:63], v[100:101]
	v_fma_f64 v[46:47], v[46:47], v[62:63], v[94:95]
	;; [unrolled: 1-line block ×11, first 2 shown]
	v_add_f64_e64 v[8:9], v[26:27], -v[8:9]
	v_add_f64_e64 v[46:47], v[28:29], -v[46:47]
	;; [unrolled: 1-line block ×11, first 2 shown]
	v_fma_f64 v[4:5], v[26:27], 2.0, -v[8:9]
	v_fma_f64 v[26:27], v[28:29], 2.0, -v[46:47]
	;; [unrolled: 1-line block ×11, first 2 shown]
	ds_store_2addr_b64 v111, v[4:5], v[8:9] offset1:2
	ds_store_2addr_b64 v112, v[26:27], v[46:47] offset1:2
	;; [unrolled: 1-line block ×10, first 2 shown]
	s_and_saveexec_b32 s1, s0
	s_cbranch_execz .LBB0_29
; %bb.28:
	v_and_or_b32 v0, 0x4fc, v110, v151
	s_delay_alu instid0(VALU_DEP_1)
	v_lshl_add_u32 v0, v0, 3, 0
	ds_store_2addr_b64 v0, v[64:65], v[62:63] offset1:2
.LBB0_29:
	s_wait_alu 0xfffe
	s_or_b32 exec_lo, exec_lo, s1
	v_add_nc_u32_e32 v0, 0xc00, v127
	v_add_nc_u32_e32 v8, 0x1000, v127
	global_wb scope:SCOPE_SE
	s_wait_dscnt 0x0
	s_barrier_signal -1
	s_barrier_wait -1
	global_inv scope:SCOPE_SE
	ds_load_2addr_b64 v[4:7], v127 offset1:56
	ds_load_2addr_b64 v[0:3], v0 offset0:120 offset1:204
	ds_load_2addr_b64 v[46:49], v8 offset0:132 offset1:188
	;; [unrolled: 1-line block ×3, first 2 shown]
	v_add_nc_u32_e32 v8, 0x1400, v127
	v_add_nc_u32_e32 v9, 0x400, v127
	;; [unrolled: 1-line block ×5, first 2 shown]
	ds_load_2addr_b64 v[50:53], v8 offset0:116 offset1:172
	ds_load_2addr_b64 v[38:41], v9 offset0:96 offset1:152
	;; [unrolled: 1-line block ×5, first 2 shown]
	ds_load_b64 v[8:9], v150
	ds_load_b64 v[86:87], v127 offset:8736
	s_and_saveexec_b32 s1, s0
	s_cbranch_execz .LBB0_31
; %bb.30:
	ds_load_b64 v[64:65], v127 offset:4480
	ds_load_b64 v[62:63], v127 offset:9184
.LBB0_31:
	s_wait_alu 0xfffe
	s_or_b32 exec_lo, exec_lo, s1
	v_and_b32_e32 v90, 3, v126
	s_delay_alu instid0(VALU_DEP_1)
	v_lshlrev_b32_e32 v26, 4, v90
	global_load_b128 v[26:29], v26, s[4:5] offset:32
	global_wb scope:SCOPE_SE
	s_wait_loadcnt_dscnt 0x0
	s_barrier_signal -1
	s_barrier_wait -1
	global_inv scope:SCOPE_SE
	v_mul_f64_e32 v[91:92], v[2:3], v[28:29]
	v_mul_f64_e32 v[93:94], v[46:47], v[28:29]
	;; [unrolled: 1-line block ×10, first 2 shown]
	v_fma_f64 v[91:92], v[16:17], v[26:27], -v[91:92]
	v_fma_f64 v[93:94], v[10:11], v[26:27], -v[93:94]
	;; [unrolled: 1-line block ×10, first 2 shown]
	v_add_f64_e64 v[91:92], v[66:67], -v[91:92]
	v_add_f64_e64 v[93:94], v[68:69], -v[93:94]
	;; [unrolled: 1-line block ×10, first 2 shown]
	v_fma_f64 v[66:67], v[66:67], 2.0, -v[91:92]
	v_fma_f64 v[115:116], v[68:69], 2.0, -v[93:94]
	;; [unrolled: 1-line block ×10, first 2 shown]
	v_and_or_b32 v68, 0x78, v149, v90
	v_and_or_b32 v69, 0xf8, v148, v90
	v_and_or_b32 v70, 0x1f8, v147, v90
	v_and_or_b32 v71, 0x1f8, v146, v90
	v_and_or_b32 v72, 0x3f8, v145, v90
	v_and_or_b32 v73, 0x2f8, v144, v90
	v_and_or_b32 v74, 0x3f8, v143, v90
	v_and_or_b32 v75, 0x3f8, v142, v90
	v_and_or_b32 v76, 0x3f8, v141, v90
	v_and_or_b32 v77, 0x7f8, v140, v90
	v_lshl_add_u32 v68, v68, 3, 0
	v_lshl_add_u32 v69, v69, 3, 0
	;; [unrolled: 1-line block ×10, first 2 shown]
	ds_store_2addr_b64 v68, v[66:67], v[91:92] offset1:4
	ds_store_2addr_b64 v69, v[115:116], v[93:94] offset1:4
	ds_store_2addr_b64 v70, v[117:118], v[95:96] offset1:4
	ds_store_2addr_b64 v71, v[119:120], v[100:101] offset1:4
	ds_store_2addr_b64 v72, v[121:122], v[102:103] offset1:4
	ds_store_2addr_b64 v73, v[123:124], v[104:105] offset1:4
	ds_store_2addr_b64 v74, v[78:79], v[106:107] offset1:4
	ds_store_2addr_b64 v75, v[80:81], v[108:109] offset1:4
	ds_store_2addr_b64 v76, v[97:98], v[111:112] offset1:4
	ds_store_2addr_b64 v77, v[14:15], v[113:114] offset1:4
	s_and_saveexec_b32 s1, s0
	s_cbranch_execz .LBB0_33
; %bb.32:
	v_mul_f64_e32 v[14:15], v[62:63], v[28:29]
	v_and_or_b32 v78, 0x4f8, v110, v90
	s_delay_alu instid0(VALU_DEP_1) | instskip(NEXT) | instid1(VALU_DEP_3)
	v_lshl_add_u32 v78, v78, 3, 0
	v_fma_f64 v[14:15], v[82:83], v[26:27], -v[14:15]
	s_delay_alu instid0(VALU_DEP_1) | instskip(NEXT) | instid1(VALU_DEP_1)
	v_add_f64_e64 v[14:15], v[84:85], -v[14:15]
	v_fma_f64 v[66:67], v[84:85], 2.0, -v[14:15]
	ds_store_2addr_b64 v78, v[66:67], v[14:15] offset1:4
.LBB0_33:
	s_wait_alu 0xfffe
	s_or_b32 exec_lo, exec_lo, s1
	v_mul_f64_e32 v[14:15], v[16:17], v[28:29]
	v_mul_f64_e32 v[10:11], v[10:11], v[28:29]
	;; [unrolled: 1-line block ×10, first 2 shown]
	global_wb scope:SCOPE_SE
	s_wait_dscnt 0x0
	s_barrier_signal -1
	s_barrier_wait -1
	global_inv scope:SCOPE_SE
	v_add_nc_u32_e32 v66, 0x400, v127
	v_add_nc_u32_e32 v67, 0x1c00, v127
	v_fma_f64 v[2:3], v[2:3], v[26:27], v[14:15]
	v_fma_f64 v[10:11], v[46:47], v[26:27], v[10:11]
	;; [unrolled: 1-line block ×10, first 2 shown]
	v_add_nc_u32_e32 v60, 0x800, v127
	v_add_nc_u32_e32 v59, 0x1800, v127
	;; [unrolled: 1-line block ×3, first 2 shown]
	v_add_f64_e64 v[78:79], v[4:5], -v[2:3]
	v_add_f64_e64 v[80:81], v[6:7], -v[10:11]
	;; [unrolled: 1-line block ×10, first 2 shown]
	v_fma_f64 v[91:92], v[4:5], 2.0, -v[78:79]
	v_fma_f64 v[93:94], v[6:7], 2.0, -v[80:81]
	;; [unrolled: 1-line block ×10, first 2 shown]
	ds_load_2addr_b64 v[0:3], v127 offset1:56
	ds_load_2addr_b64 v[4:7], v127 offset0:112 offset1:168
	ds_load_b64 v[56:57], v127 offset:8960
	ds_load_2addr_b64 v[8:11], v60 offset0:80 offset1:136
	ds_load_2addr_b64 v[52:55], v59 offset0:16 offset1:72
	;; [unrolled: 1-line block ×8, first 2 shown]
	global_wb scope:SCOPE_SE
	s_wait_dscnt 0x0
	s_barrier_signal -1
	s_barrier_wait -1
	global_inv scope:SCOPE_SE
	ds_store_2addr_b64 v68, v[91:92], v[78:79] offset1:4
	ds_store_2addr_b64 v69, v[93:94], v[80:81] offset1:4
	;; [unrolled: 1-line block ×10, first 2 shown]
	s_and_saveexec_b32 s1, s0
	s_cbranch_execz .LBB0_35
; %bb.34:
	v_mul_f64_e32 v[16:17], v[82:83], v[28:29]
	v_and_or_b32 v20, 0x4f8, v110, v90
	s_delay_alu instid0(VALU_DEP_1) | instskip(NEXT) | instid1(VALU_DEP_3)
	v_lshl_add_u32 v20, v20, 3, 0
	v_fma_f64 v[16:17], v[62:63], v[26:27], v[16:17]
	s_delay_alu instid0(VALU_DEP_1) | instskip(NEXT) | instid1(VALU_DEP_1)
	v_add_f64_e64 v[16:17], v[64:65], -v[16:17]
	v_fma_f64 v[18:19], v[64:65], 2.0, -v[16:17]
	ds_store_2addr_b64 v20, v[18:19], v[16:17] offset1:4
.LBB0_35:
	s_wait_alu 0xfffe
	s_or_b32 exec_lo, exec_lo, s1
	v_and_b32_e32 v154, 7, v126
	global_wb scope:SCOPE_SE
	s_wait_dscnt 0x0
	s_barrier_signal -1
	s_barrier_wait -1
	global_inv scope:SCOPE_SE
	v_lshlrev_b32_e32 v16, 5, v154
	v_lshrrev_b32_e32 v130, 3, v139
	v_lshrrev_b32_e32 v131, 3, v138
	;; [unrolled: 1-line block ×4, first 2 shown]
	s_clause 0x1
	global_load_b128 v[62:65], v16, s[4:5] offset:112
	global_load_b128 v[68:71], v16, s[4:5] offset:96
	ds_load_2addr_b64 v[72:75], v59 offset0:16 offset1:72
	ds_load_2addr_b64 v[28:31], v127 offset1:56
	ds_load_2addr_b64 v[16:19], v60 offset0:80 offset1:136
	ds_load_2addr_b64 v[76:79], v60 offset0:192 offset1:248
	;; [unrolled: 1-line block ×8, first 2 shown]
	ds_load_b64 v[96:97], v127 offset:8960
	v_and_b32_e32 v136, 0xff, v126
	v_lshrrev_b32_e32 v108, 3, v126
	v_lshrrev_b32_e32 v109, 3, v135
	v_mul_u32_u24_e32 v159, 24, v130
	v_mul_u32_u24_e32 v160, 24, v131
	;; [unrolled: 1-line block ×4, first 2 shown]
	v_mul_lo_u16 v163, 0xab, v136
	v_mul_u32_u24_e32 v156, 24, v108
	v_mul_u32_u24_e32 v157, 24, v109
	v_lshrrev_b32_e32 v58, 3, v134
	v_and_b32_e32 v155, 0xff, v135
	s_mov_b32 s0, 0xe8584caa
	s_mov_b32 s1, 0x3febb67a
	s_mov_b32 s3, 0xbfebb67a
	v_mul_u32_u24_e32 v158, 24, v58
	s_wait_alu 0xfffe
	s_mov_b32 s2, s0
	global_wb scope:SCOPE_SE
	s_wait_loadcnt_dscnt 0x0
	s_barrier_signal -1
	s_barrier_wait -1
	global_inv scope:SCOPE_SE
	s_mov_b32 s14, 0x36b3c0b5
	s_mov_b32 s16, 0xe976ee23
	;; [unrolled: 1-line block ×13, first 2 shown]
	s_wait_alu 0xfffe
	s_mov_b32 s20, s22
	s_mov_b32 s12, 0x37c3f68c
	;; [unrolled: 1-line block ×3, first 2 shown]
	v_mul_f64_e32 v[98:99], v[72:73], v[64:65]
	v_mul_f64_e32 v[102:103], v[76:77], v[70:71]
	;; [unrolled: 1-line block ×26, first 2 shown]
	v_fma_f64 v[52:53], v[52:53], v[62:63], -v[98:99]
	v_mul_f64_e32 v[98:99], v[38:39], v[64:65]
	v_mul_f64_e32 v[64:65], v[56:57], v[64:65]
	v_fma_f64 v[48:49], v[48:49], v[68:69], -v[102:103]
	v_fma_f64 v[10:11], v[10:11], v[68:69], -v[106:107]
	;; [unrolled: 1-line block ×4, first 2 shown]
	v_fma_f64 v[102:103], v[18:19], v[68:69], v[130:131]
	v_fma_f64 v[72:73], v[72:73], v[62:63], v[132:133]
	v_fma_f64 v[54:55], v[54:55], v[62:63], -v[100:101]
	v_fma_f64 v[76:77], v[76:77], v[68:69], v[136:137]
	v_fma_f64 v[74:75], v[74:75], v[62:63], v[138:139]
	v_fma_f64 v[50:51], v[50:51], v[68:69], -v[104:105]
	v_fma_f64 v[44:45], v[44:45], v[62:63], -v[108:109]
	v_fma_f64 v[78:79], v[78:79], v[68:69], v[140:141]
	v_fma_f64 v[80:81], v[80:81], v[62:63], v[142:143]
	v_fma_f64 v[40:41], v[40:41], v[68:69], -v[110:111]
	;; [unrolled: 4-line block ×3, first 2 shown]
	v_fma_f64 v[38:39], v[38:39], v[62:63], -v[120:121]
	v_fma_f64 v[34:35], v[34:35], v[68:69], -v[122:123]
	;; [unrolled: 1-line block ×3, first 2 shown]
	v_fma_f64 v[86:87], v[86:87], v[68:69], v[148:149]
	v_fma_f64 v[88:89], v[88:89], v[62:63], v[150:151]
	;; [unrolled: 1-line block ×4, first 2 shown]
	v_or_b32_e32 v110, v161, v154
	v_mul_lo_u16 v104, 0xab, v155
	v_or_b32_e32 v105, v156, v154
	v_or_b32_e32 v106, v157, v154
	;; [unrolled: 1-line block ×3, first 2 shown]
	v_lshl_add_u32 v150, v110, 3, 0
	v_lshrrev_b16 v32, 12, v104
	v_lshl_add_u32 v145, v105, 3, 0
	v_lshl_add_u32 v146, v106, 3, 0
	;; [unrolled: 1-line block ×3, first 2 shown]
	v_or_b32_e32 v108, v159, v154
	v_fma_f64 v[90:91], v[90:91], v[62:63], v[98:99]
	v_fma_f64 v[62:63], v[96:97], v[62:63], v[64:65]
	v_or_b32_e32 v109, v160, v154
	v_add_f64_e32 v[64:65], v[10:11], v[52:53]
	v_mul_lo_u16 v19, v32, 24
	v_add_f64_e32 v[98:99], v[42:43], v[36:37]
	v_add_f64_e32 v[112:113], v[28:29], v[102:103]
	v_add_f64_e64 v[110:111], v[102:103], -v[72:73]
	v_add_f64_e32 v[102:103], v[102:103], v[72:73]
	v_add_f64_e32 v[70:71], v[48:49], v[54:55]
	;; [unrolled: 1-line block ×3, first 2 shown]
	v_sub_nc_u16 v19, v135, v19
	v_add_f64_e32 v[94:95], v[50:51], v[44:45]
	v_lshl_add_u32 v148, v108, 3, 0
	v_add_f64_e32 v[120:121], v[78:79], v[80:81]
	v_lshl_add_u32 v149, v109, 3, 0
	v_add_f64_e32 v[96:97], v[40:41], v[46:47]
	v_add_f64_e32 v[108:109], v[0:1], v[10:11]
	;; [unrolled: 1-line block ×3, first 2 shown]
	v_add_f64_e64 v[10:11], v[10:11], -v[52:53]
	v_add_f64_e32 v[104:105], v[100:101], v[38:39]
	v_add_f64_e32 v[135:136], v[12:13], v[42:43]
	;; [unrolled: 1-line block ×5, first 2 shown]
	v_add_f64_e64 v[118:119], v[76:77], -v[74:75]
	v_add_f64_e64 v[48:49], v[48:49], -v[54:55]
	v_add_f64_e32 v[122:123], v[4:5], v[50:51]
	v_add_f64_e64 v[50:51], v[50:51], -v[44:45]
	v_add_f64_e32 v[130:131], v[6:7], v[40:41]
	;; [unrolled: 2-line block ×3, first 2 shown]
	v_add_f64_e32 v[143:144], v[8:9], v[34:35]
	v_add_f64_e64 v[42:43], v[42:43], -v[36:37]
	v_add_f64_e64 v[100:101], v[100:101], -v[38:39]
	;; [unrolled: 1-line block ×3, first 2 shown]
	v_lshrrev_b16 v33, 12, v163
	v_and_b32_e32 v19, 0xff, v19
	v_add_f64_e32 v[137:138], v[92:93], v[90:91]
	v_add_f64_e32 v[141:142], v[68:69], v[62:63]
	v_or_b32_e32 v154, v162, v154
	v_fma_f64 v[0:1], v[64:65], -0.5, v[0:1]
	v_add_f64_e32 v[64:65], v[30:31], v[76:77]
	v_fma_f64 v[12:13], v[98:99], -0.5, v[12:13]
	v_add_f64_e64 v[98:99], v[68:69], -v[62:63]
	v_add_f64_e32 v[68:69], v[16:17], v[68:69]
	v_fma_f64 v[28:29], v[102:103], -0.5, v[28:29]
	v_fma_f64 v[2:3], v[70:71], -0.5, v[2:3]
	v_add_f64_e64 v[70:71], v[78:79], -v[80:81]
	v_add_f64_e64 v[76:77], v[84:85], -v[82:83]
	v_add_f64_e32 v[78:79], v[24:25], v[78:79]
	v_add_f64_e32 v[84:85], v[26:27], v[84:85]
	v_fma_f64 v[30:31], v[116:117], -0.5, v[30:31]
	v_fma_f64 v[4:5], v[94:95], -0.5, v[4:5]
	v_add_f64_e64 v[94:95], v[86:87], -v[88:89]
	v_add_f64_e32 v[86:87], v[20:21], v[86:87]
	v_fma_f64 v[24:25], v[120:121], -0.5, v[24:25]
	v_fma_f64 v[6:7], v[96:97], -0.5, v[6:7]
	v_add_f64_e64 v[96:97], v[92:93], -v[90:91]
	v_add_f64_e32 v[92:93], v[22:23], v[92:93]
	v_fma_f64 v[26:27], v[124:125], -0.5, v[26:27]
	v_fma_f64 v[14:15], v[104:105], -0.5, v[14:15]
	;; [unrolled: 1-line block ×4, first 2 shown]
	v_add_f64_e32 v[52:53], v[108:109], v[52:53]
	v_add_f64_e32 v[72:73], v[112:113], v[72:73]
	;; [unrolled: 1-line block ×8, first 2 shown]
	v_mul_lo_u16 v18, v33, 24
	v_mul_u32_u24_e32 v152, 6, v19
	v_lshl_add_u32 v116, v154, 3, 0
	v_fma_f64 v[22:23], v[137:138], -0.5, v[22:23]
	v_fma_f64 v[16:17], v[141:142], -0.5, v[16:17]
	v_sub_nc_u16 v18, v126, v18
	v_fma_f64 v[102:103], v[110:111], s[0:1], v[0:1]
	v_fma_f64 v[0:1], v[110:111], s[2:3], v[0:1]
	v_add_f64_e32 v[64:65], v[64:65], v[74:75]
	v_add_f64_e32 v[62:63], v[68:69], v[62:63]
	v_fma_f64 v[68:69], v[10:11], s[2:3], v[28:29]
	v_fma_f64 v[10:11], v[10:11], s[0:1], v[28:29]
	;; [unrolled: 1-line block ×4, first 2 shown]
	v_add_f64_e32 v[74:75], v[78:79], v[80:81]
	v_add_f64_e32 v[78:79], v[84:85], v[82:83]
	v_fma_f64 v[84:85], v[48:49], s[2:3], v[30:31]
	v_fma_f64 v[106:107], v[70:71], s[0:1], v[4:5]
	;; [unrolled: 1-line block ×3, first 2 shown]
	v_add_f64_e32 v[80:81], v[86:87], v[88:89]
	v_fma_f64 v[86:87], v[48:49], s[0:1], v[30:31]
	v_fma_f64 v[88:89], v[50:51], s[2:3], v[24:25]
	;; [unrolled: 1-line block ×4, first 2 shown]
	v_add_f64_e32 v[82:83], v[92:93], v[90:91]
	v_fma_f64 v[90:91], v[40:41], s[2:3], v[26:27]
	v_fma_f64 v[6:7], v[76:77], s[2:3], v[6:7]
	;; [unrolled: 1-line block ×11, first 2 shown]
	v_and_b32_e32 v18, 0xff, v18
	v_lshlrev_b32_e32 v118, 4, v152
	ds_store_2addr_b64 v145, v[52:53], v[102:103] offset1:8
	ds_store_b64 v145, v[0:1] offset:128
	ds_store_2addr_b64 v146, v[54:55], v[104:105] offset1:8
	ds_store_b64 v146, v[2:3] offset:128
	;; [unrolled: 2-line block ×7, first 2 shown]
	v_fma_f64 v[110:111], v[100:101], s[2:3], v[22:23]
	v_fma_f64 v[100:101], v[100:101], s[0:1], v[22:23]
	;; [unrolled: 1-line block ×4, first 2 shown]
	v_mul_u32_u24_e32 v151, 6, v18
	global_wb scope:SCOPE_SE
	s_wait_dscnt 0x0
	s_barrier_signal -1
	s_barrier_wait -1
	global_inv scope:SCOPE_SE
	v_lshlrev_b32_e32 v117, 4, v151
	ds_load_2addr_b64 v[4:7], v127 offset1:56
	ds_load_2addr_b64 v[0:3], v127 offset0:112 offset1:168
	ds_load_2addr_b64 v[13:16], v60 offset0:80 offset1:136
	;; [unrolled: 1-line block ×9, first 2 shown]
	ds_load_b64 v[124:125], v127 offset:8960
	global_wb scope:SCOPE_SE
	s_wait_dscnt 0x0
	s_barrier_signal -1
	s_barrier_wait -1
	global_inv scope:SCOPE_SE
	ds_store_2addr_b64 v145, v[72:73], v[68:69] offset1:8
	ds_store_b64 v145, v[10:11] offset:128
	ds_store_2addr_b64 v146, v[64:65], v[84:85] offset1:8
	ds_store_b64 v146, v[86:87] offset:128
	;; [unrolled: 2-line block ×7, first 2 shown]
	global_wb scope:SCOPE_SE
	s_wait_dscnt 0x0
	s_barrier_signal -1
	s_barrier_wait -1
	global_inv scope:SCOPE_SE
	s_clause 0x3
	global_load_b128 v[50:53], v117, s[4:5] offset:368
	global_load_b128 v[54:57], v118, s[4:5] offset:368
	;; [unrolled: 1-line block ×4, first 2 shown]
	v_and_b32_e32 v8, 0xff, v134
	global_load_b128 v[68:71], v118, s[4:5] offset:432
	s_mov_b32 s0, 0x37e14327
	s_mov_b32 s1, 0x3fe948f6
	;; [unrolled: 1-line block ×3, first 2 shown]
	v_mul_lo_u16 v8, 0xab, v8
	s_mov_b32 s3, 0x3febfeb5
	s_delay_alu instid0(VALU_DEP_1) | instskip(NEXT) | instid1(VALU_DEP_1)
	v_lshrrev_b16 v17, 12, v8
	v_mul_lo_u16 v8, v17, 24
	v_and_b32_e32 v17, 0xffff, v17
	s_delay_alu instid0(VALU_DEP_2) | instskip(NEXT) | instid1(VALU_DEP_1)
	v_sub_nc_u16 v8, v134, v8
	v_and_b32_e32 v12, 0xff, v8
	s_delay_alu instid0(VALU_DEP_1) | instskip(NEXT) | instid1(VALU_DEP_1)
	v_mul_u32_u24_e32 v8, 6, v12
	v_lshlrev_b32_e32 v8, 4, v8
	s_clause 0xc
	global_load_b128 v[76:79], v8, s[4:5] offset:352
	global_load_b128 v[80:83], v117, s[4:5] offset:352
	;; [unrolled: 1-line block ×13, first 2 shown]
	ds_load_2addr_b64 v[135:138], v60 offset0:80 offset1:136
	ds_load_2addr_b64 v[139:142], v67 offset0:112 offset1:168
	;; [unrolled: 1-line block ×4, first 2 shown]
	s_wait_loadcnt_dscnt 0x1103
	v_mul_f64_e32 v[147:148], v[135:136], v[52:53]
	v_mul_f64_e32 v[52:53], v[13:14], v[52:53]
	s_wait_loadcnt_dscnt 0xf02
	v_mul_f64_e32 v[151:152], v[139:140], v[64:65]
	v_mul_f64_e32 v[64:65], v[34:35], v[64:65]
	;; [unrolled: 1-line block ×4, first 2 shown]
	s_wait_loadcnt 0xd
	v_mul_f64_e32 v[153:154], v[141:142], v[70:71]
	v_mul_f64_e32 v[70:71], v[36:37], v[70:71]
	s_wait_dscnt 0x1
	v_mul_f64_e32 v[155:156], v[143:144], v[74:75]
	v_mul_f64_e32 v[74:75], v[38:39], v[74:75]
	s_wait_loadcnt 0xc
	v_mul_f64_e32 v[157:158], v[145:146], v[78:79]
	v_mul_f64_e32 v[78:79], v[40:41], v[78:79]
	s_wait_loadcnt_dscnt 0xb00
	v_mul_f64_e32 v[159:160], v[10:11], v[82:83]
	v_fma_f64 v[147:148], v[13:14], v[50:51], -v[147:148]
	v_fma_f64 v[135:136], v[135:136], v[50:51], v[52:53]
	v_fma_f64 v[151:152], v[34:35], v[62:63], -v[151:152]
	v_fma_f64 v[62:63], v[139:140], v[62:63], v[64:65]
	v_mul_f64_e32 v[64:65], v[2:3], v[82:83]
	ds_load_2addr_b64 v[50:53], v60 offset0:192 offset1:248
	v_fma_f64 v[149:150], v[15:16], v[54:55], -v[149:150]
	ds_load_2addr_b64 v[13:16], v61 offset0:160 offset1:216
	v_fma_f64 v[137:138], v[137:138], v[54:55], v[56:57]
	v_fma_f64 v[139:140], v[36:37], v[68:69], -v[153:154]
	v_fma_f64 v[68:69], v[141:142], v[68:69], v[70:71]
	ds_load_2addr_b64 v[34:37], v59 offset0:16 offset1:72
	ds_load_2addr_b64 v[54:57], v59 offset0:128 offset1:184
	ds_load_b64 v[70:71], v127 offset:8960
	v_fma_f64 v[141:142], v[38:39], v[72:73], -v[155:156]
	v_fma_f64 v[72:73], v[143:144], v[72:73], v[74:75]
	s_wait_loadcnt_dscnt 0xa04
	v_mul_f64_e32 v[82:83], v[52:53], v[86:87]
	v_mul_f64_e32 v[86:87], v[22:23], v[86:87]
	s_wait_loadcnt_dscnt 0x903
	v_mul_f64_e32 v[74:75], v[13:14], v[90:91]
	v_mul_f64_e32 v[90:91], v[24:25], v[90:91]
	s_wait_loadcnt_dscnt 0x802
	v_mul_f64_e32 v[153:154], v[36:37], v[94:95]
	v_mul_f64_e32 v[94:95], v[30:31], v[94:95]
	s_wait_loadcnt_dscnt 0x501
	v_mul_f64_e32 v[155:156], v[56:57], v[106:107]
	v_fma_f64 v[143:144], v[40:41], v[76:77], -v[157:158]
	v_fma_f64 v[76:77], v[145:146], v[76:77], v[78:79]
	v_mul_f64_e32 v[78:79], v[54:55], v[98:99]
	v_mul_f64_e32 v[98:99], v[46:47], v[98:99]
	v_mul_f64_e32 v[145:146], v[50:51], v[102:103]
	ds_load_2addr_b64 v[38:41], v61 offset0:48 offset1:104
	v_fma_f64 v[2:3], v[2:3], v[80:81], -v[159:160]
	v_fma_f64 v[10:11], v[10:11], v[80:81], v[64:65]
	s_wait_loadcnt_dscnt 0x401
	v_mul_f64_e32 v[64:65], v[70:71], v[110:111]
	s_wait_loadcnt_dscnt 0x300
	v_mul_f64_e32 v[80:81], v[38:39], v[114:115]
	v_fma_f64 v[22:23], v[22:23], v[84:85], -v[82:83]
	v_fma_f64 v[52:53], v[52:53], v[84:85], v[86:87]
	v_fma_f64 v[24:25], v[24:25], v[88:89], -v[74:75]
	v_mul_f64_e32 v[74:75], v[20:21], v[102:103]
	v_mul_f64_e32 v[82:83], v[124:125], v[110:111]
	;; [unrolled: 1-line block ×3, first 2 shown]
	v_fma_f64 v[30:31], v[30:31], v[92:93], -v[153:154]
	v_fma_f64 v[13:14], v[13:14], v[88:89], v[90:91]
	v_mul_f64_e32 v[86:87], v[42:43], v[114:115]
	v_fma_f64 v[46:47], v[46:47], v[96:97], -v[78:79]
	s_wait_loadcnt 0x2
	v_mul_f64_e32 v[78:79], v[15:16], v[118:119]
	v_mul_f64_e32 v[88:89], v[26:27], v[118:119]
	v_fma_f64 v[36:37], v[36:37], v[92:93], v[94:95]
	v_fma_f64 v[54:55], v[54:55], v[96:97], v[98:99]
	v_fma_f64 v[20:21], v[20:21], v[100:101], -v[145:146]
	s_wait_loadcnt 0x1
	v_mul_f64_e32 v[90:91], v[40:41], v[122:123]
	v_mul_f64_e32 v[92:93], v[44:45], v[122:123]
	v_fma_f64 v[48:49], v[48:49], v[104:105], -v[155:156]
	s_wait_loadcnt 0x0
	v_mul_f64_e32 v[94:95], v[34:35], v[132:133]
	v_mul_f64_e32 v[96:97], v[28:29], v[132:133]
	v_fma_f64 v[64:65], v[124:125], v[108:109], -v[64:65]
	v_and_b32_e32 v98, 0xffff, v33
	v_and_b32_e32 v153, 0xffff, v32
	v_add_f64_e32 v[32:33], v[72:73], v[68:69]
	v_add_f64_e64 v[68:69], v[72:73], -v[68:69]
	v_fma_f64 v[42:43], v[42:43], v[112:113], -v[80:81]
	v_fma_f64 v[50:51], v[50:51], v[100:101], v[74:75]
	v_fma_f64 v[70:71], v[70:71], v[108:109], v[82:83]
	v_fma_f64 v[56:57], v[56:57], v[104:105], v[84:85]
	v_add_f64_e32 v[74:75], v[2:3], v[151:152]
	v_add_f64_e32 v[80:81], v[147:148], v[30:31]
	v_fma_f64 v[38:39], v[38:39], v[112:113], v[86:87]
	v_add_f64_e32 v[82:83], v[149:150], v[46:47]
	v_fma_f64 v[26:27], v[26:27], v[116:117], -v[78:79]
	v_fma_f64 v[15:16], v[15:16], v[116:117], v[88:89]
	v_add_f64_e32 v[78:79], v[141:142], v[139:140]
	v_add_f64_e32 v[88:89], v[10:11], v[62:63]
	v_add_f64_e64 v[10:11], v[10:11], -v[62:63]
	v_fma_f64 v[44:45], v[44:45], v[120:121], -v[90:91]
	v_fma_f64 v[40:41], v[40:41], v[120:121], v[92:93]
	v_add_f64_e32 v[86:87], v[20:21], v[48:49]
	v_fma_f64 v[28:29], v[28:29], v[130:131], -v[94:95]
	v_fma_f64 v[34:35], v[34:35], v[130:131], v[96:97]
	v_add_f64_e32 v[84:85], v[143:144], v[64:65]
	v_add_f64_e32 v[90:91], v[135:136], v[36:37]
	;; [unrolled: 1-line block ×4, first 2 shown]
	v_add_f64_e64 v[22:23], v[24:25], -v[22:23]
	v_add_f64_e64 v[24:25], v[13:14], -v[52:53]
	v_add_f64_e32 v[52:53], v[137:138], v[54:55]
	v_add_f64_e64 v[36:37], v[135:136], -v[36:37]
	v_add_f64_e64 v[2:3], v[2:3], -v[151:152]
	v_mul_u32_u24_e32 v151, 0x540, v98
	v_add_f64_e64 v[54:55], v[137:138], -v[54:55]
	v_add_f64_e64 v[30:31], v[147:148], -v[30:31]
	;; [unrolled: 1-line block ×5, first 2 shown]
	v_add_f64_e32 v[62:63], v[76:77], v[70:71]
	v_add_f64_e32 v[96:97], v[50:51], v[56:57]
	v_add_f64_e64 v[50:51], v[50:51], -v[56:57]
	v_add_f64_e32 v[98:99], v[80:81], v[74:75]
	v_add_f64_e64 v[70:71], v[76:77], -v[70:71]
	;; [unrolled: 2-line block ×4, first 2 shown]
	v_add_f64_e64 v[42:43], v[141:142], -v[139:140]
	v_add_f64_e32 v[38:39], v[38:39], v[15:16]
	v_add_f64_e64 v[118:119], v[82:83], -v[78:79]
	ds_load_2addr_b64 v[13:16], v127 offset1:56
	v_add_f64_e32 v[56:57], v[44:45], v[28:29]
	v_add_f64_e64 v[104:105], v[34:35], -v[40:41]
	v_add_f64_e32 v[76:77], v[86:87], v[84:85]
	v_add_f64_e32 v[34:35], v[40:41], v[34:35]
	v_add_f64_e64 v[28:29], v[28:29], -v[44:45]
	v_add_f64_e32 v[40:41], v[90:91], v[88:89]
	v_add_f64_e64 v[44:45], v[80:81], -v[74:75]
	v_add_f64_e64 v[74:75], v[74:75], -v[92:93]
	v_add_f64_e32 v[114:115], v[52:53], v[32:33]
	v_add_f64_e64 v[80:81], v[92:93], -v[80:81]
	v_add_f64_e32 v[108:109], v[24:25], v[36:37]
	v_add_f64_e64 v[112:113], v[24:25], -v[36:37]
	v_add_f64_e64 v[36:37], v[36:37], -v[10:11]
	v_add_f64_e32 v[106:107], v[22:23], v[30:31]
	v_add_f64_e64 v[122:123], v[54:55], -v[68:69]
	v_add_f64_e64 v[48:49], v[90:91], -v[88:89]
	;; [unrolled: 1-line block ×9, first 2 shown]
	global_wb scope:SCOPE_SE
	s_wait_dscnt 0x0
	s_barrier_signal -1
	v_add_f64_e32 v[116:117], v[96:97], v[62:63]
	s_barrier_wait -1
	v_add_f64_e32 v[92:93], v[92:93], v[98:99]
	v_add_f64_e64 v[130:131], v[50:51], -v[70:71]
	global_inv scope:SCOPE_SE
	v_add_f64_e64 v[78:79], v[78:79], -v[100:101]
	v_add_f64_e64 v[98:99], v[102:103], -v[54:55]
	v_add_f64_e32 v[72:73], v[100:101], v[72:73]
	v_add_f64_e64 v[82:83], v[100:101], -v[82:83]
	v_add_f64_e32 v[132:133], v[26:27], v[46:47]
	v_add_f64_e64 v[135:136], v[26:27], -v[46:47]
	v_add_f64_e64 v[46:47], v[46:47], -v[42:43]
	;; [unrolled: 1-line block ×5, first 2 shown]
	v_add_f64_e32 v[76:77], v[56:57], v[76:77]
	v_add_f64_e64 v[56:57], v[56:57], -v[86:87]
	v_add_f64_e32 v[137:138], v[28:29], v[20:21]
	v_add_f64_e32 v[40:41], v[94:95], v[40:41]
	v_add_f64_e64 v[52:53], v[38:39], -v[52:53]
	v_add_f64_e64 v[94:95], v[28:29], -v[20:21]
	;; [unrolled: 1-line block ×3, first 2 shown]
	v_add_f64_e32 v[38:39], v[38:39], v[114:115]
	v_add_f64_e32 v[54:55], v[102:103], v[54:55]
	v_add_f64_e64 v[84:85], v[86:87], -v[84:85]
	v_add_f64_e64 v[86:87], v[96:97], -v[62:63]
	;; [unrolled: 1-line block ×4, first 2 shown]
	s_wait_alu 0xfffe
	v_mul_f64_e32 v[74:75], s[0:1], v[74:75]
	v_add_f64_e32 v[50:51], v[104:105], v[50:51]
	v_mul_f64_e32 v[139:140], s[14:15], v[80:81]
	v_mul_f64_e32 v[112:113], s[16:17], v[112:113]
	;; [unrolled: 1-line block ×3, first 2 shown]
	v_add_f64_e64 v[102:103], v[68:69], -v[102:103]
	v_add_f64_e32 v[2:3], v[106:107], v[2:3]
	v_mul_f64_e32 v[106:107], s[2:3], v[122:123]
	v_add_f64_e64 v[104:105], v[70:71], -v[104:105]
	v_add_f64_e32 v[10:11], v[108:109], v[10:11]
	v_add_f64_e32 v[34:35], v[34:35], v[116:117]
	v_add_f64_e64 v[26:27], v[42:43], -v[26:27]
	v_add_f64_e32 v[4:5], v[4:5], v[92:93]
	v_mul_f64_e32 v[141:142], s[2:3], v[130:131]
	v_mul_f64_e32 v[88:89], s[0:1], v[88:89]
	;; [unrolled: 1-line block ×4, first 2 shown]
	v_add_f64_e32 v[6:7], v[6:7], v[72:73]
	v_mul_f64_e32 v[116:117], s[14:15], v[82:83]
	v_add_f64_e64 v[28:29], v[64:65], -v[28:29]
	v_mul_f64_e32 v[110:111], s[16:17], v[110:111]
	v_mul_f64_e32 v[145:146], s[2:3], v[30:31]
	v_add_f64_e32 v[42:43], v[132:133], v[42:43]
	v_mul_f64_e32 v[100:101], s[0:1], v[100:101]
	v_mul_f64_e32 v[108:109], s[16:17], v[124:125]
	v_add_f64_e32 v[0:1], v[0:1], v[76:77]
	v_mul_f64_e32 v[143:144], s[14:15], v[56:57]
	v_mul_f64_e32 v[124:125], s[14:15], v[90:91]
	v_mul_f64_e32 v[132:133], s[16:17], v[135:136]
	v_mul_f64_e32 v[135:136], s[2:3], v[46:47]
	v_add_f64_e32 v[64:65], v[137:138], v[64:65]
	v_add_f64_e32 v[137:138], v[13:14], v[40:41]
	v_mul_f64_e32 v[32:33], s[0:1], v[32:33]
	v_mul_f64_e32 v[13:14], s[16:17], v[94:95]
	;; [unrolled: 1-line block ×3, first 2 shown]
	v_add_f64_e32 v[147:148], v[15:16], v[38:39]
	v_add_f64_e32 v[54:55], v[54:55], v[68:69]
	v_mul_f64_e32 v[68:69], s[14:15], v[52:53]
	v_mul_f64_e32 v[62:63], s[0:1], v[62:63]
	v_fma_f64 v[80:81], v[80:81], s[14:15], v[74:75]
	v_fma_f64 v[15:16], v[44:45], s[18:19], -v[74:75]
	v_add_f64_e32 v[50:51], v[50:51], v[70:71]
	v_mul_f64_e32 v[70:71], s[14:15], v[96:97]
	v_fma_f64 v[139:140], v[44:45], s[10:11], -v[139:140]
	v_fma_f64 v[44:45], v[24:25], s[22:23], v[112:113]
	v_fma_f64 v[24:25], v[24:25], s[20:21], -v[114:115]
	v_add_f64_e32 v[74:75], v[8:9], v[34:35]
	v_fma_f64 v[8:9], v[36:37], s[2:3], -v[112:113]
	v_fma_f64 v[36:37], v[92:93], s[6:7], v[4:5]
	v_fma_f64 v[90:91], v[90:91], s[14:15], v[88:89]
	v_fma_f64 v[82:83], v[82:83], s[14:15], v[78:79]
	v_fma_f64 v[112:113], v[102:103], s[22:23], v[98:99]
	v_fma_f64 v[72:73], v[72:73], s[6:7], v[6:7]
	v_fma_f64 v[92:93], v[118:119], s[10:11], -v[116:117]
	v_fma_f64 v[98:99], v[122:123], s[2:3], -v[98:99]
	;; [unrolled: 1-line block ×5, first 2 shown]
	v_fma_f64 v[56:57], v[56:57], s[14:15], v[100:101]
	v_fma_f64 v[106:107], v[104:105], s[22:23], v[108:109]
	;; [unrolled: 1-line block ×3, first 2 shown]
	v_fma_f64 v[108:109], v[130:131], s[2:3], -v[108:109]
	v_fma_f64 v[104:105], v[104:105], s[20:21], -v[141:142]
	;; [unrolled: 1-line block ×6, first 2 shown]
	v_fma_f64 v[88:89], v[22:23], s[22:23], v[110:111]
	v_fma_f64 v[22:23], v[22:23], s[20:21], -v[145:146]
	v_fma_f64 v[110:111], v[26:27], s[22:23], v[132:133]
	v_fma_f64 v[46:47], v[46:47], s[2:3], -v[132:133]
	v_fma_f64 v[26:27], v[26:27], s[20:21], -v[135:136]
	v_fma_f64 v[40:41], v[40:41], s[6:7], v[137:138]
	v_fma_f64 v[52:53], v[52:53], s[14:15], v[32:33]
	;; [unrolled: 1-line block ×3, first 2 shown]
	v_fma_f64 v[13:14], v[20:21], s[2:3], -v[13:14]
	v_fma_f64 v[20:21], v[28:29], s[20:21], -v[94:95]
	v_fma_f64 v[28:29], v[38:39], s[6:7], v[147:148]
	v_fma_f64 v[68:69], v[120:121], s[10:11], -v[68:69]
	v_fma_f64 v[32:33], v[120:121], s[18:19], -v[32:33]
	v_fma_f64 v[96:97], v[96:97], s[14:15], v[62:63]
	;; [unrolled: 3-line block ×3, first 2 shown]
	v_fma_f64 v[44:45], v[10:11], s[12:13], v[44:45]
	v_fma_f64 v[8:9], v[10:11], s[12:13], v[8:9]
	;; [unrolled: 1-line block ×3, first 2 shown]
	v_add_f64_e32 v[24:25], v[80:81], v[36:37]
	v_add_f64_e32 v[15:16], v[15:16], v[36:37]
	;; [unrolled: 1-line block ×3, first 2 shown]
	v_fma_f64 v[62:63], v[54:55], s[12:13], v[112:113]
	v_add_f64_e32 v[82:83], v[82:83], v[72:73]
	v_fma_f64 v[80:81], v[54:55], s[12:13], v[98:99]
	v_fma_f64 v[54:55], v[54:55], s[12:13], v[102:103]
	v_add_f64_e32 v[78:79], v[78:79], v[72:73]
	v_add_f64_e32 v[72:73], v[92:93], v[72:73]
	v_mul_u32_u24_e32 v99, 0x540, v17
	v_fma_f64 v[86:87], v[50:51], s[12:13], v[106:107]
	v_add_f64_e32 v[56:57], v[56:57], v[76:77]
	v_fma_f64 v[92:93], v[50:51], s[12:13], v[108:109]
	v_fma_f64 v[50:51], v[50:51], s[12:13], v[104:105]
	v_add_f64_e32 v[94:95], v[100:101], v[76:77]
	v_add_f64_e32 v[76:77], v[84:85], v[76:77]
	v_lshlrev_b32_e32 v100, 3, v18
	v_fma_f64 v[30:31], v[2:3], s[12:13], v[30:31]
	v_fma_f64 v[17:18], v[2:3], s[12:13], v[88:89]
	;; [unrolled: 1-line block ×6, first 2 shown]
	v_add_f64_e32 v[42:43], v[90:91], v[40:41]
	v_add_f64_e32 v[48:49], v[48:49], v[40:41]
	v_add_f64_e32 v[40:41], v[114:115], v[40:41]
	v_lshlrev_b32_e32 v101, 3, v19
	v_lshlrev_b32_e32 v102, 3, v12
	v_add_f64_e32 v[52:53], v[52:53], v[28:29]
	v_fma_f64 v[84:85], v[64:65], s[12:13], v[116:117]
	v_add_f64_e32 v[32:33], v[32:33], v[28:29]
	v_add_f64_e32 v[28:29], v[68:69], v[28:29]
	v_fma_f64 v[12:13], v[64:65], s[12:13], v[13:14]
	v_fma_f64 v[19:20], v[64:65], s[12:13], v[20:21]
	v_add_f64_e32 v[64:65], v[96:97], v[34:35]
	v_add_f64_e32 v[68:69], v[70:71], v[34:35]
	;; [unrolled: 1-line block ×3, first 2 shown]
	v_mul_u32_u24_e32 v98, 0x540, v153
	v_add_f64_e32 v[38:39], v[44:45], v[24:25]
	v_add_f64_e32 v[70:71], v[10:11], v[15:16]
	v_add_f64_e64 v[88:89], v[36:37], -v[8:9]
	v_add_f64_e32 v[8:9], v[8:9], v[36:37]
	v_add_f64_e64 v[10:11], v[15:16], -v[10:11]
	v_add_f64_e64 v[14:15], v[24:25], -v[44:45]
	v_add_f64_e32 v[24:25], v[62:63], v[82:83]
	v_add_f64_e32 v[36:37], v[54:55], v[78:79]
	v_add_f64_e64 v[44:45], v[72:73], -v[80:81]
	v_add_f64_e32 v[72:73], v[80:81], v[72:73]
	v_add_f64_e64 v[54:55], v[78:79], -v[54:55]
	v_add_f64_e64 v[62:63], v[82:83], -v[62:63]
	v_add_f64_e32 v[78:79], v[86:87], v[56:57]
	v_add_f64_e64 v[56:57], v[56:57], -v[86:87]
	v_add_f64_e32 v[80:81], v[50:51], v[94:95]
	;; [unrolled: 2-line block ×3, first 2 shown]
	v_add_f64_e64 v[50:51], v[94:95], -v[50:51]
	v_add3_u32 v112, 0, v151, v100
	v_add3_u32 v113, 0, v98, v101
	;; [unrolled: 1-line block ×3, first 2 shown]
	ds_store_2addr_b64 v112, v[4:5], v[38:39] offset1:24
	ds_store_2addr_b64 v112, v[70:71], v[88:89] offset0:48 offset1:72
	ds_store_2addr_b64 v112, v[8:9], v[10:11] offset0:96 offset1:120
	ds_store_b64 v112, v[14:15] offset:1152
	ds_store_2addr_b64 v113, v[6:7], v[24:25] offset1:24
	ds_store_2addr_b64 v113, v[36:37], v[44:45] offset0:48 offset1:72
	ds_store_2addr_b64 v113, v[72:73], v[54:55] offset0:96 offset1:120
	ds_store_b64 v113, v[62:63] offset:1152
	;; [unrolled: 4-line block ×3, first 2 shown]
	v_add_f64_e64 v[86:87], v[42:43], -v[17:18]
	v_add_f64_e64 v[90:91], v[48:49], -v[2:3]
	v_add_f64_e32 v[92:93], v[30:31], v[40:41]
	v_add_f64_e64 v[40:41], v[40:41], -v[30:31]
	v_add_f64_e32 v[48:49], v[2:3], v[48:49]
	v_add_f64_e32 v[94:95], v[17:18], v[42:43]
	v_add_f64_e64 v[96:97], v[52:53], -v[22:23]
	v_add_f64_e64 v[98:99], v[32:33], -v[26:27]
	v_add_f64_e32 v[100:101], v[46:47], v[28:29]
	v_add_f64_e64 v[46:47], v[28:29], -v[46:47]
	v_add_f64_e32 v[102:103], v[26:27], v[32:33]
	v_add_f64_e32 v[52:53], v[22:23], v[52:53]
	v_add_f64_e64 v[104:105], v[64:65], -v[84:85]
	v_add_f64_e64 v[106:107], v[34:35], -v[19:20]
	v_add_f64_e32 v[108:109], v[12:13], v[68:69]
	v_add_f64_e64 v[68:69], v[68:69], -v[12:13]
	v_add_f64_e32 v[110:111], v[19:20], v[34:35]
	global_wb scope:SCOPE_SE
	s_wait_dscnt 0x0
	s_barrier_signal -1
	s_barrier_wait -1
	global_inv scope:SCOPE_SE
	ds_load_2addr_b64 v[4:7], v127 offset1:56
	ds_load_2addr_b64 v[0:3], v127 offset0:112 offset1:168
	ds_load_2addr_b64 v[24:27], v60 offset0:80 offset1:136
	;; [unrolled: 1-line block ×9, first 2 shown]
	ds_load_b64 v[42:43], v127 offset:8960
	v_add_f64_e32 v[64:65], v[84:85], v[64:65]
	global_wb scope:SCOPE_SE
	s_wait_dscnt 0x0
	s_barrier_signal -1
	s_barrier_wait -1
	global_inv scope:SCOPE_SE
	ds_store_2addr_b64 v112, v[137:138], v[86:87] offset1:24
	ds_store_2addr_b64 v112, v[90:91], v[92:93] offset0:48 offset1:72
	ds_store_2addr_b64 v112, v[40:41], v[48:49] offset0:96 offset1:120
	ds_store_b64 v112, v[94:95] offset:1152
	ds_store_2addr_b64 v113, v[147:148], v[96:97] offset1:24
	ds_store_2addr_b64 v113, v[98:99], v[100:101] offset0:48 offset1:72
	ds_store_2addr_b64 v113, v[46:47], v[102:103] offset0:96 offset1:120
	ds_store_b64 v113, v[52:53] offset:1152
	;; [unrolled: 4-line block ×3, first 2 shown]
	global_wb scope:SCOPE_SE
	s_wait_dscnt 0x0
	s_barrier_signal -1
	s_barrier_wait -1
	global_inv scope:SCOPE_SE
	s_and_saveexec_b32 s24, vcc_lo
	s_cbranch_execz .LBB0_37
; %bb.36:
	v_mad_u32_u24 v40, v134, 6, 0xfffffeb0
	v_mul_u32_u24_e32 v46, 6, v126
	v_mov_b32_e32 v41, 0
	v_mul_u32_u24_e32 v52, 6, v134
	v_add_nc_u32_e32 v125, 0x800, v127
	v_add_nc_u32_e32 v156, 0x1000, v127
	s_delay_alu instid0(VALU_DEP_4) | instskip(SKIP_2) | instid1(VALU_DEP_3)
	v_lshlrev_b64_e32 v[44:45], 4, v[40:41]
	v_lshlrev_b32_e32 v40, 4, v46
	v_lshlrev_b32_e32 v87, 4, v52
	v_add_co_u32 v56, vcc_lo, s4, v44
	s_wait_alu 0xfffd
	s_delay_alu instid0(VALU_DEP_4)
	v_add_co_ci_u32_e32 v57, vcc_lo, s5, v45, vcc_lo
	s_clause 0x11
	global_load_b128 v[44:47], v40, s[4:5] offset:2736
	global_load_b128 v[48:51], v[56:57], off offset:2736
	global_load_b128 v[52:55], v87, s[4:5] offset:2736
	global_load_b128 v[59:62], v87, s[4:5] offset:2656
	;; [unrolled: 1-line block ×9, first 2 shown]
	global_load_b128 v[91:94], v[56:57], off offset:2656
	global_load_b128 v[95:98], v[56:57], off offset:2720
	;; [unrolled: 1-line block ×3, first 2 shown]
	global_load_b128 v[103:106], v40, s[4:5] offset:2704
	global_load_b128 v[107:110], v40, s[4:5] offset:2688
	global_load_b128 v[111:114], v[56:57], off offset:2688
	global_load_b128 v[115:118], v[56:57], off offset:2704
	v_add_nc_u32_e32 v40, 0x1c00, v127
	ds_load_2addr_b64 v[119:122], v40 offset0:112 offset1:168
	ds_load_b64 v[56:57], v127 offset:8960
	v_add_nc_u32_e32 v40, 0x400, v127
	ds_load_2addr_b64 v[130:133], v40 offset0:96 offset1:152
	v_add_nc_u32_e32 v40, 0x1800, v127
	s_wait_loadcnt_dscnt 0xf01
	v_mul_f64_e32 v[146:147], v[54:55], v[56:57]
	v_mul_f64_e32 v[56:57], v[52:53], v[56:57]
	s_wait_loadcnt_dscnt 0xe00
	v_mul_f64_e32 v[148:149], v[61:62], v[132:133]
	v_mul_f64_e32 v[132:133], v[59:60], v[132:133]
	;; [unrolled: 1-line block ×6, first 2 shown]
	ds_load_2addr_b64 v[119:122], v127 offset0:112 offset1:168
	ds_load_2addr_b64 v[134:137], v40 offset0:16 offset1:72
	s_wait_loadcnt_dscnt 0xd01
	v_mul_f64_e32 v[150:151], v[65:66], v[121:122]
	s_wait_loadcnt_dscnt 0xc00
	v_mul_f64_e32 v[154:155], v[69:70], v[136:137]
	v_mul_f64_e32 v[136:137], v[67:68], v[136:137]
	;; [unrolled: 1-line block ×3, first 2 shown]
	ds_load_2addr_b64 v[121:124], v125 offset0:80 offset1:136
	v_fma_f64 v[146:147], v[42:43], v[52:53], -v[146:147]
	v_fma_f64 v[42:43], v[42:43], v[54:55], v[56:57]
	v_fma_f64 v[59:60], v[34:35], v[59:60], -v[148:149]
	v_fma_f64 v[34:35], v[34:35], v[61:62], v[132:133]
	;; [unrolled: 2-line block ×3, first 2 shown]
	ds_load_2addr_b64 v[44:47], v40 offset0:128 offset1:184
	v_fma_f64 v[142:143], v[38:39], v[48:49], -v[142:143]
	v_fma_f64 v[144:145], v[38:39], v[50:51], v[144:145]
	ds_load_2addr_b64 v[36:39], v125 offset0:192 offset1:248
	ds_load_2addr_b64 v[48:51], v156 offset0:48 offset1:104
	;; [unrolled: 1-line block ×3, first 2 shown]
	s_wait_loadcnt_dscnt 0xb04
	v_mul_f64_e32 v[56:57], v[73:74], v[121:122]
	v_mul_f64_e32 v[121:122], v[71:72], v[121:122]
	s_wait_loadcnt_dscnt 0xa03
	v_mul_f64_e32 v[61:62], v[75:76], v[46:47]
	v_mul_f64_e32 v[46:47], v[77:78], v[46:47]
	s_wait_loadcnt_dscnt 0x902
	v_mul_f64_e32 v[132:133], v[79:80], v[36:37]
	v_fma_f64 v[63:64], v[2:3], v[63:64], -v[150:151]
	v_fma_f64 v[67:68], v[22:23], v[67:68], -v[154:155]
	v_fma_f64 v[22:23], v[22:23], v[69:70], v[136:137]
	s_wait_loadcnt 0x6
	v_mul_f64_e32 v[69:70], v[93:94], v[130:131]
	v_mul_f64_e32 v[130:131], v[91:92], v[130:131]
	s_wait_loadcnt 0x5
	v_mul_f64_e32 v[136:137], v[97:98], v[44:45]
	v_mul_f64_e32 v[44:45], v[95:96], v[44:45]
	;; [unrolled: 3-line block ×3, first 2 shown]
	v_mul_f64_e32 v[36:37], v[81:82], v[36:37]
	v_fma_f64 v[2:3], v[2:3], v[65:66], v[152:153]
	v_mul_f64_e32 v[65:66], v[85:86], v[134:135]
	s_wait_dscnt 0x1
	v_mul_f64_e32 v[148:149], v[89:90], v[50:51]
	v_mul_f64_e32 v[134:135], v[83:84], v[134:135]
	;; [unrolled: 1-line block ×3, first 2 shown]
	s_wait_loadcnt_dscnt 0x0
	v_mul_f64_e32 v[152:153], v[117:118], v[54:55]
	v_mul_f64_e32 v[54:55], v[115:116], v[54:55]
	v_fma_f64 v[56:57], v[24:25], v[71:72], -v[56:57]
	v_fma_f64 v[24:25], v[24:25], v[73:74], v[121:122]
	v_mul_f64_e32 v[71:72], v[105:106], v[52:53]
	v_mul_f64_e32 v[73:74], v[109:110], v[38:39]
	;; [unrolled: 1-line block ×6, first 2 shown]
	v_fma_f64 v[61:62], v[30:31], v[77:78], v[61:62]
	v_fma_f64 v[30:31], v[30:31], v[75:76], -v[46:47]
	v_fma_f64 v[77:78], v[16:17], v[81:82], v[132:133]
	v_fma_f64 v[44:45], v[28:29], v[97:98], v[44:45]
	v_fma_f64 v[28:29], v[28:29], v[95:96], -v[136:137]
	v_fma_f64 v[16:17], v[16:17], v[79:80], -v[36:37]
	;; [unrolled: 1-line block ×3, first 2 shown]
	v_fma_f64 v[32:33], v[32:33], v[93:94], v[130:131]
	v_fma_f64 v[69:70], v[26:27], v[101:102], v[123:124]
	v_fma_f64 v[26:27], v[26:27], v[99:100], -v[150:151]
	v_fma_f64 v[65:66], v[20:21], v[83:84], -v[65:66]
	;; [unrolled: 1-line block ×3, first 2 shown]
	v_fma_f64 v[14:15], v[14:15], v[89:90], v[50:51]
	v_fma_f64 v[20:21], v[20:21], v[85:86], v[134:135]
	v_add_f64_e32 v[79:80], v[63:64], v[138:139]
	v_add_f64_e32 v[83:84], v[56:57], v[67:68]
	;; [unrolled: 1-line block ×3, first 2 shown]
	v_fma_f64 v[46:47], v[8:9], v[103:104], -v[71:72]
	v_fma_f64 v[50:51], v[18:19], v[107:108], -v[73:74]
	v_fma_f64 v[18:19], v[18:19], v[109:110], v[38:39]
	v_fma_f64 v[8:9], v[8:9], v[105:106], v[52:53]
	v_add_f64_e32 v[38:39], v[34:35], v[42:43]
	v_add_f64_e32 v[73:74], v[2:3], v[140:141]
	v_fma_f64 v[71:72], v[10:11], v[115:116], -v[152:153]
	v_fma_f64 v[85:86], v[12:13], v[111:112], -v[121:122]
	v_fma_f64 v[12:13], v[12:13], v[113:114], v[48:49]
	v_fma_f64 v[10:11], v[10:11], v[117:118], v[54:55]
	v_add_f64_e64 v[48:49], v[59:60], -v[146:147]
	v_add_f64_e32 v[59:60], v[59:60], v[146:147]
	v_add_f64_e32 v[52:53], v[77:78], v[61:62]
	v_add_f64_e64 v[34:35], v[34:35], -v[42:43]
	v_add_f64_e64 v[56:57], v[56:57], -v[67:68]
	v_add_f64_e64 v[22:23], v[24:25], -v[22:23]
	v_add_f64_e64 v[24:25], v[63:64], -v[138:139]
	v_add_f64_e64 v[95:96], v[16:17], -v[30:31]
	v_add_f64_e32 v[91:92], v[36:37], v[142:143]
	v_add_f64_e32 v[87:88], v[32:33], v[144:145]
	;; [unrolled: 1-line block ×5, first 2 shown]
	v_add_f64_e64 v[54:55], v[65:66], -v[81:82]
	v_add_f64_e32 v[30:31], v[65:66], v[81:82]
	v_add_f64_e32 v[97:98], v[20:21], v[14:15]
	v_add_f64_e64 v[14:15], v[20:21], -v[14:15]
	v_add_f64_e64 v[20:21], v[77:78], -v[61:62]
	;; [unrolled: 1-line block ×5, first 2 shown]
	v_add_f64_e32 v[65:66], v[79:80], v[83:84]
	v_add_f64_e64 v[36:37], v[36:37], -v[142:143]
	v_add_f64_e64 v[42:43], v[46:47], -v[50:51]
	v_add_f64_e32 v[46:47], v[46:47], v[50:51]
	v_add_f64_e32 v[61:62], v[8:9], v[18:19]
	v_add_f64_e64 v[18:19], v[8:9], -v[18:19]
	v_add_f64_e64 v[50:51], v[2:3], -v[140:141]
	v_add_f64_e32 v[63:64], v[73:74], v[75:76]
	v_add_f64_e64 v[67:68], v[71:72], -v[85:86]
	v_add_f64_e32 v[71:72], v[71:72], v[85:86]
	v_add_f64_e32 v[28:29], v[10:11], v[12:13]
	v_add_f64_e64 v[12:13], v[10:11], -v[12:13]
	ds_load_2addr_b64 v[8:11], v127 offset1:56
	v_mov_b32_e32 v127, v41
	v_add_f64_e32 v[2:3], v[38:39], v[52:53]
	v_add_f64_e64 v[117:118], v[56:57], -v[24:25]
	v_add_f64_e32 v[77:78], v[87:88], v[89:90]
	v_add_f64_e32 v[81:82], v[91:92], v[93:94]
	;; [unrolled: 1-line block ×3, first 2 shown]
	v_add_f64_e64 v[69:70], v[48:49], -v[54:55]
	v_add_f64_e64 v[85:86], v[54:55], -v[95:96]
	v_add_f64_e32 v[54:55], v[54:55], v[95:96]
	v_add_f64_e64 v[99:100], v[38:39], -v[97:98]
	v_add_f64_e64 v[101:102], v[97:98], -v[52:53]
	;; [unrolled: 1-line block ×7, first 2 shown]
	v_add_f64_e32 v[113:114], v[14:15], v[20:21]
	v_add_f64_e64 v[38:39], v[52:53], -v[38:39]
	v_add_f64_e64 v[16:17], v[16:17], -v[59:60]
	;; [unrolled: 1-line block ×9, first 2 shown]
	v_add_f64_e32 v[61:62], v[61:62], v[63:64]
	v_add_f64_e32 v[46:47], v[46:47], v[65:66]
	v_add_f64_e64 v[132:133], v[24:25], -v[42:43]
	v_add_f64_e32 v[97:98], v[97:98], v[2:3]
	v_add_f64_e32 v[42:43], v[42:43], v[56:57]
	v_add_f64_e64 v[56:57], v[50:51], -v[18:19]
	v_add_f64_e64 v[63:64], v[67:68], -v[26:27]
	;; [unrolled: 1-line block ×6, first 2 shown]
	v_add_f64_e32 v[18:19], v[18:19], v[22:23]
	v_add_f64_e64 v[22:23], v[75:76], -v[73:74]
	v_add_f64_e64 v[138:139], v[26:27], -v[36:37]
	;; [unrolled: 1-line block ×3, first 2 shown]
	v_add_f64_e32 v[73:74], v[28:29], v[77:78]
	v_add_f64_e32 v[75:76], v[71:72], v[81:82]
	v_add_f64_e64 v[28:29], v[87:88], -v[28:29]
	v_add_f64_e64 v[71:72], v[91:92], -v[71:72]
	v_add_f64_e32 v[30:31], v[30:31], v[103:104]
	v_add_f64_e64 v[77:78], v[83:84], -v[79:80]
	v_add_f64_e64 v[79:80], v[36:37], -v[67:68]
	v_add_f64_e32 v[26:27], v[67:68], v[26:27]
	v_add_f64_e32 v[44:45], v[12:13], v[44:45]
	v_mul_f64_e32 v[67:68], s[16:17], v[85:86]
	v_mul_f64_e32 v[81:82], s[14:15], v[101:102]
	;; [unrolled: 1-line block ×4, first 2 shown]
	v_add_f64_e64 v[101:102], v[32:33], -v[12:13]
	v_add_f64_e64 v[87:88], v[89:90], -v[87:88]
	;; [unrolled: 1-line block ×3, first 2 shown]
	v_mul_f64_e32 v[89:90], s[16:17], v[14:15]
	v_mul_f64_e32 v[52:53], s[14:15], v[52:53]
	;; [unrolled: 1-line block ×7, first 2 shown]
	s_wait_dscnt 0x0
	v_add_f64_e32 v[14:15], v[8:9], v[61:62]
	v_add_f64_e32 v[12:13], v[4:5], v[46:47]
	;; [unrolled: 1-line block ×4, first 2 shown]
	v_mul_f64_e32 v[119:120], s[0:1], v[123:124]
	v_mul_f64_e32 v[54:55], s[14:15], v[107:108]
	;; [unrolled: 1-line block ×11, first 2 shown]
	v_add_f64_e32 v[8:9], v[10:11], v[73:74]
	v_add_f64_e32 v[6:7], v[6:7], v[75:76]
	v_mul_f64_e32 v[10:11], s[0:1], v[28:29]
	v_mul_f64_e32 v[148:149], s[0:1], v[71:72]
	v_add_f64_e32 v[0:1], v[0:1], v[30:31]
	v_add_f64_e32 v[24:25], v[24:25], v[42:43]
	;; [unrolled: 1-line block ×5, first 2 shown]
	v_fma_f64 v[36:37], v[69:70], s[22:23], v[67:68]
	v_fma_f64 v[42:43], v[99:100], s[0:1], v[81:82]
	v_fma_f64 v[50:51], v[38:39], s[18:19], -v[85:86]
	v_fma_f64 v[44:45], v[69:70], s[20:21], -v[83:84]
	;; [unrolled: 1-line block ×4, first 2 shown]
	v_add_f64_e32 v[34:35], v[34:35], v[113:114]
	v_fma_f64 v[69:70], v[132:133], s[22:23], v[89:90]
	v_fma_f64 v[81:82], v[123:124], s[0:1], v[52:53]
	;; [unrolled: 1-line block ×4, first 2 shown]
	v_fma_f64 v[95:96], v[132:133], s[20:21], -v[115:116]
	v_fma_f64 v[56:57], v[56:57], s[20:21], -v[142:143]
	;; [unrolled: 1-line block ×3, first 2 shown]
	v_fma_f64 v[61:62], v[61:62], s[6:7], v[14:15]
	v_fma_f64 v[46:47], v[46:47], s[6:7], v[12:13]
	v_fma_f64 v[115:116], v[77:78], s[18:19], -v[144:145]
	v_fma_f64 v[97:98], v[97:98], s[6:7], v[2:3]
	v_fma_f64 v[99:100], v[22:23], s[18:19], -v[119:120]
	v_fma_f64 v[22:23], v[22:23], s[10:11], -v[52:53]
	v_fma_f64 v[103:104], v[121:122], s[2:3], -v[103:104]
	v_fma_f64 v[52:53], v[77:78], s[10:11], -v[59:60]
	v_fma_f64 v[59:60], v[79:80], s[22:23], v[63:64]
	v_fma_f64 v[28:29], v[28:29], s[0:1], v[65:66]
	;; [unrolled: 1-line block ×4, first 2 shown]
	v_fma_f64 v[101:102], v[101:102], s[20:21], -v[136:137]
	v_fma_f64 v[107:108], v[140:141], s[2:3], -v[107:108]
	;; [unrolled: 1-line block ×3, first 2 shown]
	v_fma_f64 v[73:74], v[73:74], s[6:7], v[8:9]
	v_fma_f64 v[75:76], v[75:76], s[6:7], v[6:7]
	v_fma_f64 v[10:11], v[87:88], s[18:19], -v[10:11]
	v_fma_f64 v[117:118], v[91:92], s[18:19], -v[148:149]
	;; [unrolled: 1-line block ×5, first 2 shown]
	v_fma_f64 v[91:92], v[105:106], s[0:1], v[54:55]
	v_fma_f64 v[93:94], v[109:110], s[22:23], v[111:112]
	;; [unrolled: 1-line block ×3, first 2 shown]
	v_fma_f64 v[4:5], v[16:17], s[18:19], -v[4:5]
	v_fma_f64 v[105:106], v[109:110], s[20:21], -v[146:147]
	;; [unrolled: 1-line block ×4, first 2 shown]
	v_fma_f64 v[109:110], v[48:49], s[12:13], v[36:37]
	v_fma_f64 v[36:37], v[48:49], s[12:13], v[44:45]
	;; [unrolled: 1-line block ×8, first 2 shown]
	v_add_f64_e32 v[81:82], v[81:82], v[61:62]
	v_add_f64_e32 v[83:84], v[83:84], v[46:47]
	v_add_f64_e32 v[89:90], v[115:116], v[46:47]
	v_add_f64_e32 v[95:96], v[42:43], v[97:98]
	v_add_f64_e32 v[56:57], v[99:100], v[61:62]
	v_add_f64_e32 v[61:62], v[22:23], v[61:62]
	v_add_f64_e32 v[42:43], v[50:51], v[97:98]
	v_fma_f64 v[50:51], v[18:19], s[12:13], v[103:104]
	v_fma_f64 v[99:100], v[26:27], s[12:13], v[59:60]
	v_add_f64_e32 v[38:39], v[38:39], v[97:98]
	v_add_f64_e32 v[97:98], v[52:53], v[46:47]
	v_fma_f64 v[103:104], v[32:33], s[12:13], v[77:78]
	v_fma_f64 v[101:102], v[32:33], s[12:13], v[101:102]
	;; [unrolled: 1-line block ×4, first 2 shown]
	v_add_f64_e32 v[28:29], v[28:29], v[73:74]
	v_add_f64_e32 v[107:108], v[71:72], v[75:76]
	;; [unrolled: 1-line block ×4, first 2 shown]
	v_fma_f64 v[111:112], v[26:27], s[12:13], v[63:64]
	v_add_f64_e32 v[115:116], v[65:66], v[73:74]
	v_add_f64_e32 v[74:75], v[87:88], v[75:76]
	v_mul_hi_u32 v18, 0x18618619, v58
	v_fma_f64 v[93:94], v[34:35], s[12:13], v[93:94]
	v_add_f64_e32 v[91:92], v[91:92], v[30:31]
	v_add_f64_e32 v[4:5], v[4:5], v[30:31]
	v_fma_f64 v[105:106], v[34:35], s[12:13], v[105:106]
	v_add_f64_e32 v[16:17], v[16:17], v[30:31]
	v_fma_f64 v[20:21], v[34:35], s[12:13], v[20:21]
	v_lshrrev_b32_e32 v40, 1, v18
	s_delay_alu instid0(VALU_DEP_1)
	v_mul_u32_u24_e32 v40, 0x3f0, v40
	v_add_f64_e32 v[58:59], v[69:70], v[83:84]
	v_add_f64_e32 v[18:19], v[109:110], v[95:96]
	v_add_f64_e64 v[48:49], v[61:62], -v[24:25]
	v_add_f64_e32 v[52:53], v[24:25], v[61:62]
	v_add_f64_e64 v[60:61], v[81:82], -v[67:68]
	;; [unrolled: 2-line block ×3, first 2 shown]
	v_add_f64_e32 v[30:31], v[44:45], v[38:39]
	v_add_f64_e32 v[44:45], v[54:55], v[56:57]
	v_add_f64_e64 v[56:57], v[56:57], -v[54:55]
	v_add_f64_e32 v[54:55], v[85:86], v[89:90]
	v_add_f64_e64 v[34:35], v[42:43], -v[36:37]
	v_add_f64_e64 v[64:65], v[28:29], -v[99:100]
	v_add_f64_e32 v[62:63], v[103:104], v[107:108]
	v_add_f64_e32 v[38:39], v[67:68], v[81:82]
	v_add_f64_e64 v[36:37], v[83:84], -v[69:70]
	v_add_f64_e64 v[68:69], v[10:11], -v[78:79]
	v_add_f64_e32 v[66:67], v[101:102], v[113:114]
	v_add_f64_e32 v[46:47], v[50:51], v[97:98]
	v_add_f64_e64 v[50:51], v[97:98], -v[50:51]
	v_add_f64_e32 v[72:73], v[111:112], v[115:116]
	v_add_f64_e64 v[70:71], v[74:75], -v[32:33]
	v_add_f64_e64 v[76:77], v[115:116], -v[111:112]
	v_add_f64_e32 v[74:75], v[32:33], v[74:75]
	v_add_f64_e64 v[42:43], v[89:90], -v[85:86]
	v_add_f64_e32 v[80:81], v[78:79], v[10:11]
	v_add_f64_e64 v[78:79], v[113:114], -v[101:102]
	v_add_f64_e32 v[84:85], v[99:100], v[28:29]
	v_add_f64_e64 v[82:83], v[107:108], -v[103:104]
	v_add_f64_e64 v[88:89], v[95:96], -v[109:110]
	v_add_f64_e32 v[86:87], v[93:94], v[91:92]
	v_add_f64_e32 v[32:33], v[105:106], v[4:5]
	v_add_f64_e64 v[28:29], v[16:17], -v[20:21]
	v_add_f64_e32 v[24:25], v[20:21], v[16:17]
	v_add_f64_e64 v[20:21], v[4:5], -v[105:106]
	v_add_f64_e64 v[16:17], v[91:92], -v[93:94]
	v_lshlrev_b64_e32 v[4:5], 4, v[126:127]
	v_add_co_u32 v90, vcc_lo, s8, v128
	s_wait_alu 0xfffd
	v_add_co_ci_u32_e32 v91, vcc_lo, s9, v129, vcc_lo
	v_lshlrev_b64_e32 v[10:11], 4, v[40:41]
	s_delay_alu instid0(VALU_DEP_3) | instskip(SKIP_1) | instid1(VALU_DEP_3)
	v_add_co_u32 v4, vcc_lo, v90, v4
	s_wait_alu 0xfffd
	v_add_co_ci_u32_e32 v5, vcc_lo, v91, v5, vcc_lo
	s_delay_alu instid0(VALU_DEP_2) | instskip(SKIP_1) | instid1(VALU_DEP_2)
	v_add_co_u32 v10, vcc_lo, v4, v10
	s_wait_alu 0xfffd
	v_add_co_ci_u32_e32 v11, vcc_lo, v5, v11, vcc_lo
	s_clause 0x14
	global_store_b128 v[4:5], v[12:15], off
	global_store_b128 v[4:5], v[6:9], off offset:896
	global_store_b128 v[4:5], v[58:61], off offset:2688
	;; [unrolled: 1-line block ×20, first 2 shown]
.LBB0_37:
	s_nop 0
	s_sendmsg sendmsg(MSG_DEALLOC_VGPRS)
	s_endpgm
	.section	.rodata,"a",@progbits
	.p2align	6, 0x0
	.amdhsa_kernel fft_rtc_fwd_len1176_factors_2_2_2_3_7_7_wgs_56_tpt_56_halfLds_dp_ip_CI_unitstride_sbrr_dirReg
		.amdhsa_group_segment_fixed_size 0
		.amdhsa_private_segment_fixed_size 0
		.amdhsa_kernarg_size 88
		.amdhsa_user_sgpr_count 2
		.amdhsa_user_sgpr_dispatch_ptr 0
		.amdhsa_user_sgpr_queue_ptr 0
		.amdhsa_user_sgpr_kernarg_segment_ptr 1
		.amdhsa_user_sgpr_dispatch_id 0
		.amdhsa_user_sgpr_private_segment_size 0
		.amdhsa_wavefront_size32 1
		.amdhsa_uses_dynamic_stack 0
		.amdhsa_enable_private_segment 0
		.amdhsa_system_sgpr_workgroup_id_x 1
		.amdhsa_system_sgpr_workgroup_id_y 0
		.amdhsa_system_sgpr_workgroup_id_z 0
		.amdhsa_system_sgpr_workgroup_info 0
		.amdhsa_system_vgpr_workitem_id 0
		.amdhsa_next_free_vgpr 164
		.amdhsa_next_free_sgpr 32
		.amdhsa_reserve_vcc 1
		.amdhsa_float_round_mode_32 0
		.amdhsa_float_round_mode_16_64 0
		.amdhsa_float_denorm_mode_32 3
		.amdhsa_float_denorm_mode_16_64 3
		.amdhsa_fp16_overflow 0
		.amdhsa_workgroup_processor_mode 1
		.amdhsa_memory_ordered 1
		.amdhsa_forward_progress 0
		.amdhsa_round_robin_scheduling 0
		.amdhsa_exception_fp_ieee_invalid_op 0
		.amdhsa_exception_fp_denorm_src 0
		.amdhsa_exception_fp_ieee_div_zero 0
		.amdhsa_exception_fp_ieee_overflow 0
		.amdhsa_exception_fp_ieee_underflow 0
		.amdhsa_exception_fp_ieee_inexact 0
		.amdhsa_exception_int_div_zero 0
	.end_amdhsa_kernel
	.text
.Lfunc_end0:
	.size	fft_rtc_fwd_len1176_factors_2_2_2_3_7_7_wgs_56_tpt_56_halfLds_dp_ip_CI_unitstride_sbrr_dirReg, .Lfunc_end0-fft_rtc_fwd_len1176_factors_2_2_2_3_7_7_wgs_56_tpt_56_halfLds_dp_ip_CI_unitstride_sbrr_dirReg
                                        ; -- End function
	.section	.AMDGPU.csdata,"",@progbits
; Kernel info:
; codeLenInByte = 13516
; NumSgprs: 34
; NumVgprs: 164
; ScratchSize: 0
; MemoryBound: 1
; FloatMode: 240
; IeeeMode: 1
; LDSByteSize: 0 bytes/workgroup (compile time only)
; SGPRBlocks: 4
; VGPRBlocks: 20
; NumSGPRsForWavesPerEU: 34
; NumVGPRsForWavesPerEU: 164
; Occupancy: 9
; WaveLimiterHint : 1
; COMPUTE_PGM_RSRC2:SCRATCH_EN: 0
; COMPUTE_PGM_RSRC2:USER_SGPR: 2
; COMPUTE_PGM_RSRC2:TRAP_HANDLER: 0
; COMPUTE_PGM_RSRC2:TGID_X_EN: 1
; COMPUTE_PGM_RSRC2:TGID_Y_EN: 0
; COMPUTE_PGM_RSRC2:TGID_Z_EN: 0
; COMPUTE_PGM_RSRC2:TIDIG_COMP_CNT: 0
	.text
	.p2alignl 7, 3214868480
	.fill 96, 4, 3214868480
	.type	__hip_cuid_e99d200c1c26ffe2,@object ; @__hip_cuid_e99d200c1c26ffe2
	.section	.bss,"aw",@nobits
	.globl	__hip_cuid_e99d200c1c26ffe2
__hip_cuid_e99d200c1c26ffe2:
	.byte	0                               ; 0x0
	.size	__hip_cuid_e99d200c1c26ffe2, 1

	.ident	"AMD clang version 19.0.0git (https://github.com/RadeonOpenCompute/llvm-project roc-6.4.0 25133 c7fe45cf4b819c5991fe208aaa96edf142730f1d)"
	.section	".note.GNU-stack","",@progbits
	.addrsig
	.addrsig_sym __hip_cuid_e99d200c1c26ffe2
	.amdgpu_metadata
---
amdhsa.kernels:
  - .args:
      - .actual_access:  read_only
        .address_space:  global
        .offset:         0
        .size:           8
        .value_kind:     global_buffer
      - .offset:         8
        .size:           8
        .value_kind:     by_value
      - .actual_access:  read_only
        .address_space:  global
        .offset:         16
        .size:           8
        .value_kind:     global_buffer
      - .actual_access:  read_only
        .address_space:  global
        .offset:         24
        .size:           8
        .value_kind:     global_buffer
      - .offset:         32
        .size:           8
        .value_kind:     by_value
      - .actual_access:  read_only
        .address_space:  global
        .offset:         40
        .size:           8
        .value_kind:     global_buffer
      - .actual_access:  read_only
        .address_space:  global
        .offset:         48
        .size:           8
        .value_kind:     global_buffer
      - .offset:         56
        .size:           4
        .value_kind:     by_value
      - .actual_access:  read_only
        .address_space:  global
        .offset:         64
        .size:           8
        .value_kind:     global_buffer
      - .actual_access:  read_only
        .address_space:  global
        .offset:         72
        .size:           8
        .value_kind:     global_buffer
      - .address_space:  global
        .offset:         80
        .size:           8
        .value_kind:     global_buffer
    .group_segment_fixed_size: 0
    .kernarg_segment_align: 8
    .kernarg_segment_size: 88
    .language:       OpenCL C
    .language_version:
      - 2
      - 0
    .max_flat_workgroup_size: 56
    .name:           fft_rtc_fwd_len1176_factors_2_2_2_3_7_7_wgs_56_tpt_56_halfLds_dp_ip_CI_unitstride_sbrr_dirReg
    .private_segment_fixed_size: 0
    .sgpr_count:     34
    .sgpr_spill_count: 0
    .symbol:         fft_rtc_fwd_len1176_factors_2_2_2_3_7_7_wgs_56_tpt_56_halfLds_dp_ip_CI_unitstride_sbrr_dirReg.kd
    .uniform_work_group_size: 1
    .uses_dynamic_stack: false
    .vgpr_count:     164
    .vgpr_spill_count: 0
    .wavefront_size: 32
    .workgroup_processor_mode: 1
amdhsa.target:   amdgcn-amd-amdhsa--gfx1201
amdhsa.version:
  - 1
  - 2
...

	.end_amdgpu_metadata
